;; amdgpu-corpus repo=vllm-project/vllm kind=triton arch=gfx90a opt=O3 lang=triton
	.amdgcn_target "amdgcn-amd-amdhsa--gfx90a"
	.amdhsa_code_object_version 5
	.text
	.globl	_fwd_kernel                     ; -- Begin function _fwd_kernel
	.p2align	8
	.type	_fwd_kernel,@function
_fwd_kernel:                            ; @_fwd_kernel
.Lfunc_begin0:
	.cfi_sections .debug_frame
	.cfi_startproc
; %bb.106:
	.file	1 "/root/src/amdgpu-assembly/repos/vllm-project__vllm/triton_aot_kernels" "triton_prefill_attention_aot.py"
	.loc	1 8 0 prologue_end              ; triton_prefill_attention_aot.py:8:0
	s_load_dwordx2 s[6:7], s[4:5], 0x0
	s_load_dwordx8 s[8:15], s[4:5], 0x8
	s_waitcnt lgkmcnt(0)
	s_branch .LBB0_0
	.loc	1 0 0 is_stmt 0                 ; :0:0
.Ltmp0:
	.p2align	8
; %bb.107:
.LBB0_0:
	s_mov_b64 s[98:99], s[2:3]
	s_mov_b64 s[96:97], s[0:1]
	s_load_dwordx2 s[2:3], s[4:5], 0x28
	s_load_dwordx2 s[0:1], s[4:5], 0x38
	s_add_u32 s96, s96, s19
	s_addc_u32 s97, s97, 0
	s_mov_b32 s19, s17
.Ltmp1:
	.loc	1 39 43 is_stmt 1               ; triton_prefill_attention_aot.py:39:43
	s_ashr_i32 s17, s16, 31
	s_mov_b64 s[20:21], s[4:5]
	s_lshl_b64 s[4:5], s[16:17], 2
	s_waitcnt lgkmcnt(0)
	s_add_u32 s2, s2, s4
	s_addc_u32 s3, s3, s5
	.loc	1 39 32 is_stmt 0               ; triton_prefill_attention_aot.py:39:32
	s_load_dword s13, s[2:3], 0x0
	.loc	1 40 57 is_stmt 1               ; triton_prefill_attention_aot.py:40:57
	s_add_u32 s2, s14, s4
	s_addc_u32 s3, s15, s5
	.loc	1 40 43 is_stmt 0               ; triton_prefill_attention_aot.py:40:43
	s_load_dword s14, s[2:3], 0x0
	.loc	1 42 32 is_stmt 1               ; triton_prefill_attention_aot.py:42:32
	s_lshl_b32 s15, s18, 6
	.loc	1 45 26                         ; triton_prefill_attention_aot.py:45:26
	v_lshrrev_b32_e32 v145, 7, v0
	.loc	1 46 26                         ; triton_prefill_attention_aot.py:46:26
	v_and_b32_e32 v18, 0x7f, v0
	.loc	1 47 33                         ; triton_prefill_attention_aot.py:47:33
	v_or_b32_e32 v4, s15, v145
	.loc	1 50 21                         ; triton_prefill_attention_aot.py:50:21
	s_mul_i32 s1, s1, s19
	.loc	1 50 10 is_stmt 0               ; triton_prefill_attention_aot.py:50:10
	v_add_u32_e32 v2, s1, v18
	.loc	1 60 32 is_stmt 1               ; triton_prefill_attention_aot.py:60:32
	s_waitcnt lgkmcnt(0)
	v_cmp_gt_i32_e32 vcc, s13, v4
	v_mov_b32_e32 v1, 0
	v_mov_b32_e32 v3, 0
	.loc	1 59 8                          ; triton_prefill_attention_aot.py:59:8
	s_and_saveexec_b64 s[2:3], vcc
	s_cbranch_execz .LBB0_2
; %bb.1:
	.loc	1 49 40                         ; triton_prefill_attention_aot.py:49:40
	v_add_u32_e32 v3, s14, v4
	.loc	1 51 10                         ; triton_prefill_attention_aot.py:51:10
	v_mad_u64_u32 v[4:5], s[4:5], v3, s0, v[2:3]
	.loc	1 59 12                         ; triton_prefill_attention_aot.py:59:12
	v_ashrrev_i32_e32 v5, 31, v4
	v_lshlrev_b64 v[4:5], 1, v[4:5]
	v_mov_b32_e32 v3, s7
	v_add_co_u32_e32 v4, vcc, s6, v4
	v_addc_co_u32_e32 v5, vcc, v3, v5, vcc
	.loc	1 59 8 is_stmt 0                ; triton_prefill_attention_aot.py:59:8
	global_load_ushort v3, v[4:5], off
.LBB0_2:
	.loc	1 0 8                           ; triton_prefill_attention_aot.py:0:8
	s_or_b64 exec, exec, s[2:3]
	.loc	1 47 33 is_stmt 1               ; triton_prefill_attention_aot.py:47:33
	v_or3_b32 v4, v145, s15, 4
	.loc	1 60 32                         ; triton_prefill_attention_aot.py:60:32
	v_cmp_gt_i32_e32 vcc, s13, v4
	.loc	1 59 8                          ; triton_prefill_attention_aot.py:59:8
	s_and_saveexec_b64 s[2:3], vcc
	s_cbranch_execz .LBB0_4
; %bb.3:
	.loc	1 49 40                         ; triton_prefill_attention_aot.py:49:40
	v_add_u32_e32 v1, s14, v4
	.loc	1 51 10                         ; triton_prefill_attention_aot.py:51:10
	s_waitcnt vmcnt(0)
	v_mad_u64_u32 v[4:5], s[4:5], v1, s0, v[2:3]
	.loc	1 59 12                         ; triton_prefill_attention_aot.py:59:12
	v_ashrrev_i32_e32 v5, 31, v4
	v_lshlrev_b64 v[4:5], 1, v[4:5]
	v_mov_b32_e32 v1, s7
	v_add_co_u32_e32 v4, vcc, s6, v4
	v_addc_co_u32_e32 v5, vcc, v1, v5, vcc
	.loc	1 59 8 is_stmt 0                ; triton_prefill_attention_aot.py:59:8
	global_load_ushort v1, v[4:5], off
.LBB0_4:
	.loc	1 0 8                           ; triton_prefill_attention_aot.py:0:8
	s_or_b64 exec, exec, s[2:3]
	.loc	1 47 33 is_stmt 1               ; triton_prefill_attention_aot.py:47:33
	v_or3_b32 v6, v145, s15, 8
	.loc	1 60 32                         ; triton_prefill_attention_aot.py:60:32
	v_cmp_gt_i32_e32 vcc, s13, v6
	v_mov_b32_e32 v4, 0
	v_mov_b32_e32 v5, 0
	.loc	1 59 8                          ; triton_prefill_attention_aot.py:59:8
	s_and_saveexec_b64 s[2:3], vcc
	s_cbranch_execz .LBB0_6
; %bb.5:
	.loc	1 49 40                         ; triton_prefill_attention_aot.py:49:40
	v_add_u32_e32 v5, s14, v6
	.loc	1 51 10                         ; triton_prefill_attention_aot.py:51:10
	s_waitcnt vmcnt(0)
	v_mad_u64_u32 v[6:7], s[4:5], v5, s0, v[2:3]
	.loc	1 59 12                         ; triton_prefill_attention_aot.py:59:12
	v_ashrrev_i32_e32 v7, 31, v6
	v_lshlrev_b64 v[6:7], 1, v[6:7]
	v_mov_b32_e32 v5, s7
	v_add_co_u32_e32 v6, vcc, s6, v6
	v_addc_co_u32_e32 v7, vcc, v5, v7, vcc
	.loc	1 59 8 is_stmt 0                ; triton_prefill_attention_aot.py:59:8
	global_load_ushort v5, v[6:7], off
.LBB0_6:
	.loc	1 0 8                           ; triton_prefill_attention_aot.py:0:8
	s_or_b64 exec, exec, s[2:3]
	.loc	1 47 33 is_stmt 1               ; triton_prefill_attention_aot.py:47:33
	v_or3_b32 v6, v145, s15, 12
	.loc	1 60 32                         ; triton_prefill_attention_aot.py:60:32
	v_cmp_gt_i32_e32 vcc, s13, v6
	.loc	1 59 8                          ; triton_prefill_attention_aot.py:59:8
	s_and_saveexec_b64 s[2:3], vcc
	s_cbranch_execz .LBB0_8
; %bb.7:
	.loc	1 49 40                         ; triton_prefill_attention_aot.py:49:40
	v_add_u32_e32 v4, s14, v6
	.loc	1 51 10                         ; triton_prefill_attention_aot.py:51:10
	s_waitcnt vmcnt(0)
	v_mad_u64_u32 v[6:7], s[4:5], v4, s0, v[2:3]
	.loc	1 59 12                         ; triton_prefill_attention_aot.py:59:12
	v_ashrrev_i32_e32 v7, 31, v6
	v_lshlrev_b64 v[6:7], 1, v[6:7]
	v_mov_b32_e32 v4, s7
	v_add_co_u32_e32 v6, vcc, s6, v6
	v_addc_co_u32_e32 v7, vcc, v4, v7, vcc
	.loc	1 59 8 is_stmt 0                ; triton_prefill_attention_aot.py:59:8
	global_load_ushort v4, v[6:7], off
.LBB0_8:
	.loc	1 0 8                           ; triton_prefill_attention_aot.py:0:8
	s_or_b64 exec, exec, s[2:3]
	.loc	1 47 33 is_stmt 1               ; triton_prefill_attention_aot.py:47:33
	v_or3_b32 v8, v145, s15, 16
	.loc	1 60 32                         ; triton_prefill_attention_aot.py:60:32
	v_cmp_gt_i32_e32 vcc, s13, v8
	v_mov_b32_e32 v6, 0
	v_mov_b32_e32 v7, 0
	.loc	1 59 8                          ; triton_prefill_attention_aot.py:59:8
	s_and_saveexec_b64 s[2:3], vcc
	s_cbranch_execz .LBB0_10
; %bb.9:
	.loc	1 49 40                         ; triton_prefill_attention_aot.py:49:40
	v_add_u32_e32 v7, s14, v8
	.loc	1 51 10                         ; triton_prefill_attention_aot.py:51:10
	s_waitcnt vmcnt(0)
	v_mad_u64_u32 v[8:9], s[4:5], v7, s0, v[2:3]
	.loc	1 59 12                         ; triton_prefill_attention_aot.py:59:12
	v_ashrrev_i32_e32 v9, 31, v8
	v_lshlrev_b64 v[8:9], 1, v[8:9]
	v_mov_b32_e32 v7, s7
	v_add_co_u32_e32 v8, vcc, s6, v8
	v_addc_co_u32_e32 v9, vcc, v7, v9, vcc
	.loc	1 59 8 is_stmt 0                ; triton_prefill_attention_aot.py:59:8
	global_load_ushort v7, v[8:9], off
.LBB0_10:
	.loc	1 0 8                           ; triton_prefill_attention_aot.py:0:8
	s_or_b64 exec, exec, s[2:3]
	.loc	1 47 33 is_stmt 1               ; triton_prefill_attention_aot.py:47:33
	v_or3_b32 v8, v145, s15, 20
	.loc	1 60 32                         ; triton_prefill_attention_aot.py:60:32
	v_cmp_gt_i32_e32 vcc, s13, v8
	.loc	1 59 8                          ; triton_prefill_attention_aot.py:59:8
	s_and_saveexec_b64 s[2:3], vcc
	s_cbranch_execz .LBB0_12
; %bb.11:
	.loc	1 49 40                         ; triton_prefill_attention_aot.py:49:40
	v_add_u32_e32 v6, s14, v8
	.loc	1 51 10                         ; triton_prefill_attention_aot.py:51:10
	s_waitcnt vmcnt(0)
	v_mad_u64_u32 v[8:9], s[4:5], v6, s0, v[2:3]
	.loc	1 59 12                         ; triton_prefill_attention_aot.py:59:12
	v_ashrrev_i32_e32 v9, 31, v8
	v_lshlrev_b64 v[8:9], 1, v[8:9]
	v_mov_b32_e32 v6, s7
	v_add_co_u32_e32 v8, vcc, s6, v8
	v_addc_co_u32_e32 v9, vcc, v6, v9, vcc
	.loc	1 59 8 is_stmt 0                ; triton_prefill_attention_aot.py:59:8
	global_load_ushort v6, v[8:9], off
.LBB0_12:
	.loc	1 0 8                           ; triton_prefill_attention_aot.py:0:8
	s_or_b64 exec, exec, s[2:3]
	.loc	1 47 33 is_stmt 1               ; triton_prefill_attention_aot.py:47:33
	v_or3_b32 v10, v145, s15, 24
	.loc	1 60 32                         ; triton_prefill_attention_aot.py:60:32
	v_cmp_gt_i32_e32 vcc, s13, v10
	v_mov_b32_e32 v8, 0
	v_mov_b32_e32 v9, 0
	.loc	1 59 8                          ; triton_prefill_attention_aot.py:59:8
	s_and_saveexec_b64 s[2:3], vcc
	s_cbranch_execz .LBB0_14
; %bb.13:
	.loc	1 49 40                         ; triton_prefill_attention_aot.py:49:40
	v_add_u32_e32 v9, s14, v10
	.loc	1 51 10                         ; triton_prefill_attention_aot.py:51:10
	s_waitcnt vmcnt(0)
	v_mad_u64_u32 v[10:11], s[4:5], v9, s0, v[2:3]
	.loc	1 59 12                         ; triton_prefill_attention_aot.py:59:12
	v_ashrrev_i32_e32 v11, 31, v10
	v_lshlrev_b64 v[10:11], 1, v[10:11]
	v_mov_b32_e32 v9, s7
	v_add_co_u32_e32 v10, vcc, s6, v10
	v_addc_co_u32_e32 v11, vcc, v9, v11, vcc
	.loc	1 59 8 is_stmt 0                ; triton_prefill_attention_aot.py:59:8
	global_load_ushort v9, v[10:11], off
.LBB0_14:
	.loc	1 0 8                           ; triton_prefill_attention_aot.py:0:8
	s_or_b64 exec, exec, s[2:3]
	.loc	1 47 33 is_stmt 1               ; triton_prefill_attention_aot.py:47:33
	v_or3_b32 v10, v145, s15, 28
	.loc	1 60 32                         ; triton_prefill_attention_aot.py:60:32
	v_cmp_gt_i32_e32 vcc, s13, v10
	.loc	1 59 8                          ; triton_prefill_attention_aot.py:59:8
	s_and_saveexec_b64 s[2:3], vcc
	s_cbranch_execz .LBB0_16
; %bb.15:
	.loc	1 49 40                         ; triton_prefill_attention_aot.py:49:40
	v_add_u32_e32 v8, s14, v10
	.loc	1 51 10                         ; triton_prefill_attention_aot.py:51:10
	s_waitcnt vmcnt(0)
	v_mad_u64_u32 v[10:11], s[4:5], v8, s0, v[2:3]
	.loc	1 59 12                         ; triton_prefill_attention_aot.py:59:12
	v_ashrrev_i32_e32 v11, 31, v10
	v_lshlrev_b64 v[10:11], 1, v[10:11]
	v_mov_b32_e32 v8, s7
	v_add_co_u32_e32 v10, vcc, s6, v10
	v_addc_co_u32_e32 v11, vcc, v8, v11, vcc
	.loc	1 59 8 is_stmt 0                ; triton_prefill_attention_aot.py:59:8
	global_load_ushort v8, v[10:11], off
.LBB0_16:
	.loc	1 0 8                           ; triton_prefill_attention_aot.py:0:8
	s_or_b64 exec, exec, s[2:3]
	.loc	1 47 33 is_stmt 1               ; triton_prefill_attention_aot.py:47:33
	v_or3_b32 v12, v145, s15, 32
	.loc	1 60 32                         ; triton_prefill_attention_aot.py:60:32
	v_cmp_gt_i32_e32 vcc, s13, v12
	v_mov_b32_e32 v10, 0
	v_mov_b32_e32 v11, 0
	.loc	1 59 8                          ; triton_prefill_attention_aot.py:59:8
	s_and_saveexec_b64 s[2:3], vcc
	s_cbranch_execz .LBB0_18
; %bb.17:
	.loc	1 49 40                         ; triton_prefill_attention_aot.py:49:40
	v_add_u32_e32 v11, s14, v12
	.loc	1 51 10                         ; triton_prefill_attention_aot.py:51:10
	s_waitcnt vmcnt(0)
	v_mad_u64_u32 v[12:13], s[4:5], v11, s0, v[2:3]
	.loc	1 59 12                         ; triton_prefill_attention_aot.py:59:12
	v_ashrrev_i32_e32 v13, 31, v12
	v_lshlrev_b64 v[12:13], 1, v[12:13]
	v_mov_b32_e32 v11, s7
	v_add_co_u32_e32 v12, vcc, s6, v12
	v_addc_co_u32_e32 v13, vcc, v11, v13, vcc
	.loc	1 59 8 is_stmt 0                ; triton_prefill_attention_aot.py:59:8
	global_load_ushort v11, v[12:13], off
.LBB0_18:
	.loc	1 0 8                           ; triton_prefill_attention_aot.py:0:8
	s_or_b64 exec, exec, s[2:3]
	.loc	1 47 33 is_stmt 1               ; triton_prefill_attention_aot.py:47:33
	v_or3_b32 v12, v145, s15, 36
	.loc	1 60 32                         ; triton_prefill_attention_aot.py:60:32
	v_cmp_gt_i32_e32 vcc, s13, v12
	.loc	1 59 8                          ; triton_prefill_attention_aot.py:59:8
	s_and_saveexec_b64 s[2:3], vcc
	s_cbranch_execz .LBB0_20
; %bb.19:
	.loc	1 49 40                         ; triton_prefill_attention_aot.py:49:40
	v_add_u32_e32 v10, s14, v12
	.loc	1 51 10                         ; triton_prefill_attention_aot.py:51:10
	s_waitcnt vmcnt(0)
	v_mad_u64_u32 v[12:13], s[4:5], v10, s0, v[2:3]
	.loc	1 59 12                         ; triton_prefill_attention_aot.py:59:12
	v_ashrrev_i32_e32 v13, 31, v12
	v_lshlrev_b64 v[12:13], 1, v[12:13]
	v_mov_b32_e32 v10, s7
	v_add_co_u32_e32 v12, vcc, s6, v12
	v_addc_co_u32_e32 v13, vcc, v10, v13, vcc
	.loc	1 59 8 is_stmt 0                ; triton_prefill_attention_aot.py:59:8
	global_load_ushort v10, v[12:13], off
.LBB0_20:
	.loc	1 0 8                           ; triton_prefill_attention_aot.py:0:8
	s_or_b64 exec, exec, s[2:3]
	.loc	1 47 33 is_stmt 1               ; triton_prefill_attention_aot.py:47:33
	v_or3_b32 v14, v145, s15, 40
	.loc	1 60 32                         ; triton_prefill_attention_aot.py:60:32
	v_cmp_gt_i32_e32 vcc, s13, v14
	v_mov_b32_e32 v12, 0
	v_mov_b32_e32 v13, 0
	.loc	1 59 8                          ; triton_prefill_attention_aot.py:59:8
	s_and_saveexec_b64 s[2:3], vcc
	s_cbranch_execz .LBB0_22
; %bb.21:
	.loc	1 49 40                         ; triton_prefill_attention_aot.py:49:40
	v_add_u32_e32 v13, s14, v14
	.loc	1 51 10                         ; triton_prefill_attention_aot.py:51:10
	s_waitcnt vmcnt(0)
	v_mad_u64_u32 v[14:15], s[4:5], v13, s0, v[2:3]
	.loc	1 59 12                         ; triton_prefill_attention_aot.py:59:12
	v_ashrrev_i32_e32 v15, 31, v14
	v_lshlrev_b64 v[14:15], 1, v[14:15]
	v_mov_b32_e32 v13, s7
	v_add_co_u32_e32 v14, vcc, s6, v14
	v_addc_co_u32_e32 v15, vcc, v13, v15, vcc
	.loc	1 59 8 is_stmt 0                ; triton_prefill_attention_aot.py:59:8
	global_load_ushort v13, v[14:15], off
.LBB0_22:
	.loc	1 0 8                           ; triton_prefill_attention_aot.py:0:8
	s_or_b64 exec, exec, s[2:3]
	.loc	1 47 33 is_stmt 1               ; triton_prefill_attention_aot.py:47:33
	v_or3_b32 v14, v145, s15, 44
	.loc	1 60 32                         ; triton_prefill_attention_aot.py:60:32
	v_cmp_gt_i32_e32 vcc, s13, v14
	.loc	1 59 8                          ; triton_prefill_attention_aot.py:59:8
	s_and_saveexec_b64 s[2:3], vcc
	s_cbranch_execz .LBB0_24
; %bb.23:
	.loc	1 49 40                         ; triton_prefill_attention_aot.py:49:40
	v_add_u32_e32 v12, s14, v14
	.loc	1 51 10                         ; triton_prefill_attention_aot.py:51:10
	s_waitcnt vmcnt(0)
	v_mad_u64_u32 v[14:15], s[4:5], v12, s0, v[2:3]
	.loc	1 59 12                         ; triton_prefill_attention_aot.py:59:12
	v_ashrrev_i32_e32 v15, 31, v14
	v_lshlrev_b64 v[14:15], 1, v[14:15]
	v_mov_b32_e32 v12, s7
	v_add_co_u32_e32 v14, vcc, s6, v14
	v_addc_co_u32_e32 v15, vcc, v12, v15, vcc
	.loc	1 59 8 is_stmt 0                ; triton_prefill_attention_aot.py:59:8
	global_load_ushort v12, v[14:15], off
.LBB0_24:
	.loc	1 0 8                           ; triton_prefill_attention_aot.py:0:8
	s_or_b64 exec, exec, s[2:3]
	.loc	1 47 33 is_stmt 1               ; triton_prefill_attention_aot.py:47:33
	v_or3_b32 v16, v145, s15, 48
	.loc	1 60 32                         ; triton_prefill_attention_aot.py:60:32
	v_cmp_gt_i32_e32 vcc, s13, v16
	v_mov_b32_e32 v14, 0
	v_mov_b32_e32 v15, 0
	.loc	1 59 8                          ; triton_prefill_attention_aot.py:59:8
	s_and_saveexec_b64 s[2:3], vcc
	s_cbranch_execz .LBB0_26
; %bb.25:
	.loc	1 49 40                         ; triton_prefill_attention_aot.py:49:40
	v_add_u32_e32 v15, s14, v16
	.loc	1 51 10                         ; triton_prefill_attention_aot.py:51:10
	s_waitcnt vmcnt(0)
	v_mad_u64_u32 v[16:17], s[4:5], v15, s0, v[2:3]
	.loc	1 59 12                         ; triton_prefill_attention_aot.py:59:12
	v_ashrrev_i32_e32 v17, 31, v16
	v_lshlrev_b64 v[16:17], 1, v[16:17]
	v_mov_b32_e32 v15, s7
	v_add_co_u32_e32 v16, vcc, s6, v16
	v_addc_co_u32_e32 v17, vcc, v15, v17, vcc
	.loc	1 59 8 is_stmt 0                ; triton_prefill_attention_aot.py:59:8
	global_load_ushort v15, v[16:17], off
.LBB0_26:
	.loc	1 0 8                           ; triton_prefill_attention_aot.py:0:8
	s_or_b64 exec, exec, s[2:3]
	.loc	1 47 33 is_stmt 1               ; triton_prefill_attention_aot.py:47:33
	v_or3_b32 v16, v145, s15, 52
	.loc	1 60 32                         ; triton_prefill_attention_aot.py:60:32
	v_cmp_gt_i32_e32 vcc, s13, v16
	.loc	1 59 8                          ; triton_prefill_attention_aot.py:59:8
	s_and_saveexec_b64 s[2:3], vcc
	s_cbranch_execz .LBB0_28
; %bb.27:
	.loc	1 49 40                         ; triton_prefill_attention_aot.py:49:40
	v_add_u32_e32 v14, s14, v16
	.loc	1 51 10                         ; triton_prefill_attention_aot.py:51:10
	s_waitcnt vmcnt(0)
	v_mad_u64_u32 v[16:17], s[4:5], v14, s0, v[2:3]
	.loc	1 59 12                         ; triton_prefill_attention_aot.py:59:12
	v_ashrrev_i32_e32 v17, 31, v16
	v_lshlrev_b64 v[16:17], 1, v[16:17]
	v_mov_b32_e32 v14, s7
	v_add_co_u32_e32 v16, vcc, s6, v16
	v_addc_co_u32_e32 v17, vcc, v14, v17, vcc
	.loc	1 59 8 is_stmt 0                ; triton_prefill_attention_aot.py:59:8
	global_load_ushort v14, v[16:17], off
.LBB0_28:
	.loc	1 0 8                           ; triton_prefill_attention_aot.py:0:8
	s_or_b64 exec, exec, s[2:3]
	.loc	1 47 33 is_stmt 1               ; triton_prefill_attention_aot.py:47:33
	v_or3_b32 v19, v145, s15, 56
	.loc	1 60 32                         ; triton_prefill_attention_aot.py:60:32
	v_cmp_gt_i32_e32 vcc, s13, v19
	v_mov_b32_e32 v16, 0
	v_mov_b32_e32 v17, 0
	.loc	1 59 8                          ; triton_prefill_attention_aot.py:59:8
	s_and_saveexec_b64 s[2:3], vcc
	s_cbranch_execz .LBB0_30
; %bb.29:
	.loc	1 49 40                         ; triton_prefill_attention_aot.py:49:40
	v_add_u32_e32 v17, s14, v19
	.loc	1 51 10                         ; triton_prefill_attention_aot.py:51:10
	s_waitcnt vmcnt(0)
	v_mad_u64_u32 v[20:21], s[4:5], v17, s0, v[2:3]
	.loc	1 59 12                         ; triton_prefill_attention_aot.py:59:12
	v_ashrrev_i32_e32 v21, 31, v20
	v_lshlrev_b64 v[20:21], 1, v[20:21]
	v_mov_b32_e32 v17, s7
	v_add_co_u32_e32 v20, vcc, s6, v20
	v_addc_co_u32_e32 v21, vcc, v17, v21, vcc
	.loc	1 59 8 is_stmt 0                ; triton_prefill_attention_aot.py:59:8
	global_load_ushort v17, v[20:21], off
.LBB0_30:
	.loc	1 0 8                           ; triton_prefill_attention_aot.py:0:8
	s_or_b64 exec, exec, s[2:3]
	.loc	1 47 33 is_stmt 1               ; triton_prefill_attention_aot.py:47:33
	v_or3_b32 v19, v145, s15, 60
	v_and_b32_e32 v22, 0x180, v0
	.loc	1 60 32                         ; triton_prefill_attention_aot.py:60:32
	v_cmp_gt_i32_e32 vcc, s13, v19
	.loc	1 59 8                          ; triton_prefill_attention_aot.py:59:8
	s_and_saveexec_b64 s[2:3], vcc
	s_cbranch_execz .LBB0_32
; %bb.31:
	.loc	1 49 40                         ; triton_prefill_attention_aot.py:49:40
	v_add_u32_e32 v16, s14, v19
	.loc	1 51 10                         ; triton_prefill_attention_aot.py:51:10
	s_waitcnt vmcnt(0)
	v_mad_u64_u32 v[20:21], s[0:1], v16, s0, v[2:3]
	.loc	1 59 12                         ; triton_prefill_attention_aot.py:59:12
	v_ashrrev_i32_e32 v21, 31, v20
	v_lshlrev_b64 v[20:21], 1, v[20:21]
	v_mov_b32_e32 v2, s7
	v_add_co_u32_e32 v20, vcc, s6, v20
	v_addc_co_u32_e32 v21, vcc, v2, v21, vcc
	.loc	1 59 8 is_stmt 0                ; triton_prefill_attention_aot.py:59:8
	global_load_ushort v16, v[20:21], off
.LBB0_32:
	.loc	1 0 8                           ; triton_prefill_attention_aot.py:0:8
	s_or_b64 exec, exec, s[2:3]
	.loc	1 59 8                          ; triton_prefill_attention_aot.py:59:8
	v_lshlrev_b32_e32 v19, 1, v0
	v_lshrrev_b32_e32 v2, 4, v22
	v_xor_b32_e32 v2, v19, v2
	v_add_u32_e32 v153, 0, v2
	s_waitcnt vmcnt(0)
	ds_write_b16 v153, v3
	ds_write_b16 v153, v7 offset:4096
	ds_write_b16 v153, v11 offset:8192
	;; [unrolled: 1-line block ×3, first 2 shown]
	v_xor_b32_e32 v3, 32, v2
	.loc	1 78 46 is_stmt 1               ; triton_prefill_attention_aot.py:78:46
	s_add_i32 s0, s15, 64
	.loc	1 59 8                          ; triton_prefill_attention_aot.py:59:8
	v_add_u32_e32 v154, 0, v3
	.loc	1 78 30                         ; triton_prefill_attention_aot.py:78:30
	s_min_i32 s0, s13, s0
	.loc	1 59 8                          ; triton_prefill_attention_aot.py:59:8
	ds_write_b16 v154, v1 offset:1024
	ds_write_b16 v154, v6 offset:5120
	;; [unrolled: 1-line block ×4, first 2 shown]
	v_xor_b32_e32 v1, 64, v2
	.loc	1 72 44                         ; triton_prefill_attention_aot.py:72:44
	s_cmp_lt_i32 s15, s13
	.loc	1 45 26                         ; triton_prefill_attention_aot.py:45:26
	v_and_b32_e32 v42, 31, v0
	v_and_b32_e32 v20, 64, v0
	.loc	1 59 8                          ; triton_prefill_attention_aot.py:59:8
	v_add_u32_e32 v155, 0, v1
	v_xor_b32_e32 v1, 0x60, v2
	.loc	1 82 31                         ; triton_prefill_attention_aot.py:82:31
	s_cselect_b32 s0, s0, 0
	.loc	1 46 26                         ; triton_prefill_attention_aot.py:46:26
	v_and_b32_e32 v21, 32, v0
	.loc	1 59 8                          ; triton_prefill_attention_aot.py:59:8
	v_add_u32_e32 v156, 0, v1
	s_mov_b32 s29, s0
	.loc	1 84 53                         ; triton_prefill_attention_aot.py:84:53
	s_cmp_gt_i32 s0, 0
	v_lshlrev_b32_e32 v43, 2, v42
	v_lshlrev_b32_e32 v148, 1, v20
	.loc	1 59 8                          ; triton_prefill_attention_aot.py:59:8
	ds_write_b16 v155, v5 offset:2048
	ds_write_b16 v155, v9 offset:6144
	ds_write_b16 v155, v13 offset:10240
	ds_write_b16 v155, v17 offset:14336
	ds_write_b16 v156, v4 offset:3072
	ds_write_b16 v156, v8 offset:7168
	ds_write_b16 v156, v12 offset:11264
	ds_write_b16 v156, v16 offset:15360
	s_waitcnt lgkmcnt(0)
	s_barrier
	.loc	1 84 53                         ; triton_prefill_attention_aot.py:84:53
	s_cbranch_scc1 .LBB0_34
; %bb.33:                               ; %.._crit_edge_crit_edge
	.loc	1 0 53 is_stmt 0                ; triton_prefill_attention_aot.py:0:53
	s_mov_b64 s[0:1], 0
	s_branch .LBB0_35
.LBB0_34:
	s_mov_b64 s[0:1], -1
.LBB0_35:                               ; %Flow
	s_load_dwordx2 s[2:3], s[20:21], 0x30
                                        ; implicit-def: $vgpr255 : SGPR spill to VGPR lane
	v_and_b32_e32 v45, 0x100, v0
	v_and_b32_e32 v44, 0xc0, v0
	v_lshrrev_b32_e32 v149, 3, v21
	v_mov_b32_e32 v22, 0
	s_waitcnt lgkmcnt(0)
	v_writelane_b32 v255, s2, 0
	v_writelane_b32 v255, s3, 1
	s_andn2_b64 vcc, exec, s[0:1]
	v_mov_b32_e32 v17, 0
	v_mov_b32_e32 v16, 0
	;; [unrolled: 1-line block ×16, first 2 shown]
	v_lshrrev_b32_e32 v46, 1, v45
	s_cbranch_vccnz .LBB0_103
; %bb.36:                               ; %.lr.ph
	v_writelane_b32 v255, s20, 2
	s_load_dwordx4 s[0:3], s[20:21], 0x40
	.loc	1 37 30 is_stmt 1               ; triton_prefill_attention_aot.py:37:30
	s_ashr_i32 s4, s19, 31
	s_lshr_b32 s4, s4, 30
	s_add_i32 s4, s19, s4
	s_ashr_i32 s4, s4, 2
	.loc	1 53 30                         ; triton_prefill_attention_aot.py:53:30
	s_waitcnt lgkmcnt(0)
	v_mul_lo_u32 v1, s0, v145
	.loc	1 53 57 is_stmt 0               ; triton_prefill_attention_aot.py:53:57
	s_mul_i32 s1, s1, s4
	.loc	1 53 69                         ; triton_prefill_attention_aot.py:53:69
	v_add3_u32 v2, s1, v18, v1
	.loc	1 59 8 is_stmt 1                ; triton_prefill_attention_aot.py:59:8
	v_lshlrev_b32_e32 v1, 3, v0
	v_and_b32_e32 v39, 0x78, v1
	v_lshrrev_b32_e32 v40, 2, v21
	.loc	1 53 69                         ; triton_prefill_attention_aot.py:53:69
	v_mad_u64_u32 v[8:9], s[6:7], s0, 12, v[2:3]
	v_mad_u64_u32 v[12:13], s[6:7], s0, 20, v[2:3]
	;; [unrolled: 1-line block ×11, first 2 shown]
	.loc	1 59 8                          ; triton_prefill_attention_aot.py:59:8
	v_lshlrev_b32_e32 v38, 8, v42
	v_lshlrev_b32_e32 v1, 7, v20
	v_xor_b32_e32 v3, v39, v40
	v_or3_b32 v41, v3, v1, v38
	.loc	1 64 17                         ; triton_prefill_attention_aot.py:64:17
	v_ashrrev_i32_e32 v3, 31, v2
	v_lshlrev_b64 v[36:37], 1, v[2:3]
	v_add_co_u32_e32 v36, vcc, s8, v36
	buffer_store_dword v36, off, s[96:99], 0 ; 4-byte Folded Spill
	s_nop 0
	buffer_store_dword v37, off, s[96:99], 0 offset:4 ; 4-byte Folded Spill
	.loc	1 53 69                         ; triton_prefill_attention_aot.py:53:69
	v_lshl_add_u32 v4, s0, 2, v2
	.loc	1 64 17                         ; triton_prefill_attention_aot.py:64:17
	v_mov_b32_e32 v1, s9
	v_ashrrev_i32_e32 v5, 31, v4
	v_lshlrev_b64 v[4:5], 1, v[4:5]
	.loc	1 53 69                         ; triton_prefill_attention_aot.py:53:69
	v_lshl_add_u32 v6, s0, 3, v2
	.loc	1 64 17                         ; triton_prefill_attention_aot.py:64:17
	v_mov_b32_e32 v3, s9
	v_ashrrev_i32_e32 v7, 31, v6
	v_ashrrev_i32_e32 v9, 31, v8
	.loc	1 53 69                         ; triton_prefill_attention_aot.py:53:69
	v_lshl_add_u32 v10, s0, 4, v2
	.loc	1 64 17                         ; triton_prefill_attention_aot.py:64:17
	v_ashrrev_i32_e32 v11, 31, v10
	v_ashrrev_i32_e32 v13, 31, v12
	v_ashrrev_i32_e32 v15, 31, v14
	v_ashrrev_i32_e32 v17, 31, v16
	.loc	1 53 69                         ; triton_prefill_attention_aot.py:53:69
	v_lshl_add_u32 v2, s0, 5, v2
	.loc	1 64 17                         ; triton_prefill_attention_aot.py:64:17
	v_ashrrev_i32_e32 v23, 31, v22
	v_ashrrev_i32_e32 v25, 31, v24
	;; [unrolled: 1-line block ×7, first 2 shown]
	.loc	1 54 57                         ; triton_prefill_attention_aot.py:54:57
	s_mul_i32 s1, s3, s4
	v_writelane_b32 v255, s21, 3
	v_writelane_b32 v255, s19, 4
	;; [unrolled: 1-line block ×3, first 2 shown]
	.loc	1 84 53                         ; triton_prefill_attention_aot.py:84:53
	s_mul_i32 s26, s14, s0
	s_lshl_b32 s0, s0, 6
	v_add_u32_e32 v179, 0, v43
	.loc	1 59 8                          ; triton_prefill_attention_aot.py:59:8
	s_mov_b32 s33, 0
	.loc	1 84 53                         ; triton_prefill_attention_aot.py:84:53
	s_mul_i32 s16, s14, s2
	v_add_u32_e32 v170, 0, v19
	s_mov_b32 s28, 0x5040100
	v_mov_b32_e32 v182, 0
	v_add_u32_e32 v180, v179, v46
	v_mov_b32_e32 v181, 0xccbebc20
	buffer_store_dword v45, off, s[96:99], 0 offset:84 ; 4-byte Folded Spill
	buffer_store_dword v44, off, s[96:99], 0 offset:80 ; 4-byte Folded Spill
	;; [unrolled: 1-line block ×5, first 2 shown]
	.loc	1 64 17                         ; triton_prefill_attention_aot.py:64:17
	v_addc_co_u32_e32 v1, vcc, v1, v37, vcc
	v_add_co_u32_e32 v4, vcc, s8, v4
	buffer_store_dword v4, off, s[96:99], 0 offset:16 ; 4-byte Folded Spill
	s_nop 0
	buffer_store_dword v5, off, s[96:99], 0 offset:20 ; 4-byte Folded Spill
	buffer_store_dword v0, off, s[96:99], 0 offset:8 ; 4-byte Folded Spill
	s_nop 0
	buffer_store_dword v1, off, s[96:99], 0 offset:12 ; 4-byte Folded Spill
	v_addc_co_u32_e32 v1, vcc, v3, v5, vcc
	v_lshlrev_b64 v[4:5], 1, v[6:7]
	v_add_co_u32_e32 v4, vcc, s8, v4
	buffer_store_dword v4, off, s[96:99], 0 offset:32 ; 4-byte Folded Spill
	s_nop 0
	buffer_store_dword v5, off, s[96:99], 0 offset:36 ; 4-byte Folded Spill
	buffer_store_dword v0, off, s[96:99], 0 offset:24 ; 4-byte Folded Spill
	s_nop 0
	buffer_store_dword v1, off, s[96:99], 0 offset:28 ; 4-byte Folded Spill
	v_addc_co_u32_e32 v1, vcc, v3, v5, vcc
	v_lshlrev_b64 v[4:5], 1, v[8:9]
	v_add_co_u32_e32 v4, vcc, s8, v4
	buffer_store_dword v4, off, s[96:99], 0 offset:48 ; 4-byte Folded Spill
	s_nop 0
	buffer_store_dword v5, off, s[96:99], 0 offset:52 ; 4-byte Folded Spill
	buffer_store_dword v0, off, s[96:99], 0 offset:40 ; 4-byte Folded Spill
	s_nop 0
	buffer_store_dword v1, off, s[96:99], 0 offset:44 ; 4-byte Folded Spill
	v_addc_co_u32_e32 v1, vcc, v3, v5, vcc
	v_lshlrev_b64 v[4:5], 1, v[10:11]
	v_add_co_u32_e32 v4, vcc, s8, v4
	buffer_store_dword v4, off, s[96:99], 0 offset:64 ; 4-byte Folded Spill
	s_nop 0
	buffer_store_dword v5, off, s[96:99], 0 offset:68 ; 4-byte Folded Spill
	buffer_store_dword v0, off, s[96:99], 0 offset:56 ; 4-byte Folded Spill
	s_nop 0
	buffer_store_dword v1, off, s[96:99], 0 offset:60 ; 4-byte Folded Spill
	v_addc_co_u32_e32 v89, vcc, v3, v5, vcc
	v_lshlrev_b64 v[4:5], 1, v[12:13]
	v_add_co_u32_e32 v92, vcc, s8, v4
	v_addc_co_u32_e32 v91, vcc, v3, v5, vcc
	v_lshlrev_b64 v[4:5], 1, v[14:15]
	v_add_co_u32_e32 v94, vcc, s8, v4
	v_addc_co_u32_e32 v93, vcc, v3, v5, vcc
	v_lshlrev_b64 v[4:5], 1, v[16:17]
	v_add_co_u32_e32 v96, vcc, s8, v4
	v_addc_co_u32_e32 v95, vcc, v3, v5, vcc
	v_ashrrev_i32_e32 v3, 31, v2
	v_lshlrev_b64 v[2:3], 1, v[2:3]
	v_mov_b32_e32 v4, s9
	v_add_co_u32_e32 v98, vcc, s8, v2
	v_addc_co_u32_e32 v97, vcc, v4, v3, vcc
	v_lshlrev_b64 v[2:3], 1, v[22:23]
	v_add_co_u32_e32 v100, vcc, s8, v2
	v_addc_co_u32_e32 v99, vcc, v4, v3, vcc
	v_lshlrev_b64 v[2:3], 1, v[24:25]
	;; [unrolled: 3-line block ×7, first 2 shown]
	v_add_co_u32_e32 v112, vcc, s8, v2
	.loc	1 54 30                         ; triton_prefill_attention_aot.py:54:30
	v_mul_lo_u32 v2, s2, v145
	.loc	1 54 69 is_stmt 0               ; triton_prefill_attention_aot.py:54:69
	v_add3_u32 v2, s1, v18, v2
	.loc	1 64 17 is_stmt 1               ; triton_prefill_attention_aot.py:64:17
	v_addc_co_u32_e32 v111, vcc, v4, v3, vcc
	.loc	1 54 69                         ; triton_prefill_attention_aot.py:54:69
	v_mad_u64_u32 v[4:5], s[4:5], s2, 12, v[2:3]
	v_mad_u64_u32 v[6:7], s[4:5], s2, 20, v[2:3]
	;; [unrolled: 1-line block ×11, first 2 shown]
	.loc	1 65 17                         ; triton_prefill_attention_aot.py:65:17
	v_ashrrev_i32_e32 v3, 31, v2
	v_lshlrev_b64 v[30:31], 1, v[2:3]
	v_mov_b32_e32 v5, s11
	v_add_co_u32_e32 v114, vcc, s10, v30
	.loc	1 54 69                         ; triton_prefill_attention_aot.py:54:69
	v_lshl_add_u32 v30, s2, 2, v2
	.loc	1 65 17                         ; triton_prefill_attention_aot.py:65:17
	v_addc_co_u32_e32 v113, vcc, v5, v31, vcc
	v_ashrrev_i32_e32 v31, 31, v30
	v_lshlrev_b64 v[30:31], 1, v[30:31]
	v_mov_b32_e32 v3, s11
	v_add_co_u32_e32 v116, vcc, s10, v30
	.loc	1 54 69                         ; triton_prefill_attention_aot.py:54:69
	v_lshl_add_u32 v30, s2, 3, v2
	.loc	1 65 17                         ; triton_prefill_attention_aot.py:65:17
	v_addc_co_u32_e32 v115, vcc, v3, v31, vcc
	v_ashrrev_i32_e32 v31, 31, v30
	v_lshlrev_b64 v[30:31], 1, v[30:31]
	v_add_co_u32_e32 v118, vcc, s10, v30
	v_ashrrev_i32_e32 v5, 31, v4
	v_addc_co_u32_e32 v117, vcc, v3, v31, vcc
	v_lshlrev_b64 v[4:5], 1, v[4:5]
	v_add_co_u32_e32 v120, vcc, s10, v4
	.loc	1 54 69                         ; triton_prefill_attention_aot.py:54:69
	v_lshl_add_u32 v4, s2, 4, v2
	.loc	1 65 17                         ; triton_prefill_attention_aot.py:65:17
	v_addc_co_u32_e32 v119, vcc, v3, v5, vcc
	v_ashrrev_i32_e32 v5, 31, v4
	v_lshlrev_b64 v[4:5], 1, v[4:5]
	v_add_co_u32_e32 v122, vcc, s10, v4
	v_ashrrev_i32_e32 v7, 31, v6
	v_addc_co_u32_e32 v121, vcc, v3, v5, vcc
	v_lshlrev_b64 v[4:5], 1, v[6:7]
	v_add_co_u32_e32 v124, vcc, s10, v4
	v_ashrrev_i32_e32 v9, 31, v8
	v_addc_co_u32_e32 v123, vcc, v3, v5, vcc
	;; [unrolled: 4-line block ×3, first 2 shown]
	v_lshlrev_b64 v[4:5], 1, v[10:11]
	v_add_co_u32_e32 v128, vcc, s10, v4
	.loc	1 54 69                         ; triton_prefill_attention_aot.py:54:69
	v_lshl_add_u32 v2, s2, 5, v2
	.loc	1 65 17                         ; triton_prefill_attention_aot.py:65:17
	v_addc_co_u32_e32 v127, vcc, v3, v5, vcc
	v_ashrrev_i32_e32 v3, 31, v2
	v_lshlrev_b64 v[2:3], 1, v[2:3]
	v_mov_b32_e32 v4, s11
	v_add_co_u32_e32 v130, vcc, s10, v2
	v_ashrrev_i32_e32 v13, 31, v12
	v_addc_co_u32_e32 v129, vcc, v4, v3, vcc
	v_lshlrev_b64 v[2:3], 1, v[12:13]
	v_add_co_u32_e32 v132, vcc, s10, v2
	v_ashrrev_i32_e32 v15, 31, v14
	v_addc_co_u32_e32 v131, vcc, v4, v3, vcc
	v_lshlrev_b64 v[2:3], 1, v[14:15]
	;; [unrolled: 4-line block ×7, first 2 shown]
	v_add_co_u32_e32 v144, vcc, s10, v2
	v_addc_co_u32_e32 v143, vcc, v4, v3, vcc
	v_lshl_add_u32 v3, v21, 4, 0
	v_lshrrev_b32_e32 v4, 2, v45
	v_add_u32_e32 v4, v3, v4
	v_add_u32_e32 v3, v3, v20
	v_lshlrev_b32_e32 v6, 1, v42
	v_add_u32_e32 v157, v3, v6
	.loc	1 59 8                          ; triton_prefill_attention_aot.py:59:8
	v_xor_b32_e32 v3, 0x50, v41
	v_add_u32_e32 v18, 0, v3
	v_xor_b32_e32 v3, 0x60, v41
	v_lshlrev_b32_e32 v5, 5, v21
	v_add_u32_e32 v21, 0, v3
	v_add_u32_e32 v22, 0, v41
	v_xor_b32_e32 v3, 0x70, v41
	v_xad_u32 v23, v41, 16, 0
	v_xad_u32 v24, v41, 32, 0
	;; [unrolled: 1-line block ×4, first 2 shown]
	v_add_u32_e32 v27, 0, v3
	ds_read2_b64 v[50:53], v22 offset1:16
	ds_read2_b64 v[54:57], v23 offset1:16
	;; [unrolled: 1-line block ×8, first 2 shown]
	v_or_b32_e32 v2, v38, v39
	v_xor_b32_e32 v2, v2, v40
	v_add3_u32 v5, 0, v44, v5
	.loc	1 45 26                         ; triton_prefill_attention_aot.py:45:26
	v_lshrrev_b32_e32 v3, 1, v20
	v_lshlrev_b32_e32 v0, 2, v0
	.loc	1 84 53                         ; triton_prefill_attention_aot.py:84:53
	s_lshl_b32 s1, s2, 6
	v_add_u32_e32 v158, v4, v6
	v_add_u32_e32 v159, v5, v6
	.loc	1 47 33                         ; triton_prefill_attention_aot.py:47:33
	v_or3_b32 v160, v42, v3, s15
	v_xor_b32_e32 v161, 0x80, v0
	v_writelane_b32 v255, s1, 6
	v_xor_b32_e32 v0, 16, v2
	v_xor_b32_e32 v3, 32, v2
	;; [unrolled: 1-line block ×7, first 2 shown]
	v_writelane_b32 v255, s14, 7
	v_add_u32_e32 v162, 0, v2
	v_add_u32_e32 v163, 0, v0
	;; [unrolled: 1-line block ×8, first 2 shown]
	v_or_b32_e32 v0, 0x400, v19
	v_or_b32_e32 v2, 0xc00, v19
	;; [unrolled: 1-line block ×8, first 2 shown]
	v_mov_b32_e32 v16, 0
	v_writelane_b32 v255, s0, 8
	v_add_u32_e32 v171, 0, v0
	v_add_u32_e32 v172, 0, v2
	;; [unrolled: 1-line block ×8, first 2 shown]
	v_mov_b32_e32 v17, v16
	v_mov_b32_e32 v14, v16
	v_mov_b32_e32 v15, v16
	v_mov_b32_e32 v12, v16
	v_mov_b32_e32 v13, v16
	v_mov_b32_e32 v10, v16
	v_mov_b32_e32 v11, v16
	v_mov_b32_e32 v8, v16
	v_mov_b32_e32 v9, v16
	v_mov_b32_e32 v6, v16
	v_mov_b32_e32 v7, v16
	v_mov_b32_e32 v4, v16
	v_mov_b32_e32 v5, v16
	v_mov_b32_e32 v2, v16
	v_mov_b32_e32 v3, v16
	v_mov_b32_e32 v0, 0xff800000
	s_branch .LBB0_38
.LBB0_37:                               ;   in Loop: Header=BB0_38 Depth=1
	.loc	1 0 33 is_stmt 0                ; triton_prefill_attention_aot.py:0:33
	s_or_b64 exec, exec, s[0:1]
	.loc	1 134 17 is_stmt 1              ; triton_prefill_attention_aot.py:134:17
	v_cvt_f16_f32_e32 v1, v22
	v_cvt_f16_f32_e32 v22, v23
	;; [unrolled: 1-line block ×32, first 2 shown]
	s_waitcnt lgkmcnt(0)
	s_barrier
	ds_write_b16 v157, v1
	ds_write_b16 v157, v22 offset:128
	ds_write_b16 v157, v23 offset:256
	;; [unrolled: 1-line block ×31, first 2 shown]
	s_waitcnt lgkmcnt(0)
	s_barrier
	ds_read_u16 v1, v158
	ds_read_u16 v22, v158 offset:128
	ds_read_u16 v23, v158 offset:256
	ds_read_u16 v24, v158 offset:384
	ds_read_u16 v26, v158 offset:1024
	ds_read_u16 v27, v158 offset:1152
	ds_read_u16 v28, v158 offset:1280
	ds_read_u16 v29, v158 offset:1408
	ds_read_u16 v30, v158 offset:2048
	ds_read_u16 v31, v158 offset:2176
	ds_read_u16 v32, v158 offset:2304
	ds_read_u16 v33, v158 offset:2432
	ds_read_u16 v34, v158 offset:3072
	ds_read_u16 v35, v158 offset:3200
	ds_read_u16 v36, v158 offset:3328
	ds_read_u16 v37, v158 offset:3456
	ds_read_u16 v38, v158 offset:4096
	ds_read_u16 v39, v158 offset:4224
	ds_read_u16 v40, v158 offset:4352
	ds_read_u16 v41, v158 offset:4480
	ds_read_u16 v42, v158 offset:5120
	ds_read_u16 v43, v158 offset:5248
	ds_read_u16 v44, v158 offset:5376
	ds_read_u16 v45, v158 offset:5504
	ds_read_u16 v46, v158 offset:6144
	ds_read_u16 v47, v158 offset:6272
	ds_read_u16 v48, v158 offset:6400
	ds_read_u16 v49, v158 offset:6528
	ds_read_u16 v82, v158 offset:7168
	ds_read_u16 v83, v158 offset:7296
	ds_read_u16 v84, v158 offset:7424
	ds_read_u16 v85, v158 offset:7552
	.loc	1 130 12                        ; triton_prefill_attention_aot.py:130:12
	s_waitcnt lgkmcnt(0)
	s_barrier
	s_waitcnt vmcnt(0)
	ds_write_b16 v170, v183
	ds_write_b16 v171, v189
	ds_write_b16 v170, v188 offset:2048
	ds_write_b16 v172, v191
	ds_write_b16 v170, v190 offset:4096
	;; [unrolled: 2-line block ×7, first 2 shown]
	ds_write_b16 v178, v202
	s_waitcnt lgkmcnt(0)
	s_barrier
	ds_read_u16 v86, v159
	ds_read_u16 v87, v159 offset:256
	ds_read_u16 v25, v159 offset:512
	;; [unrolled: 1-line block ×7, first 2 shown]
	.loc	1 135 27                        ; triton_prefill_attention_aot.py:135:27
	v_perm_b32 v23, v24, v23, s28
	s_waitcnt lgkmcnt(4)
	v_perm_b32 v25, v88, v25, s28
	v_perm_b32 v24, v87, v86, s28
	;; [unrolled: 1-line block ×3, first 2 shown]
	v_pk_mul_f32 v[16:17], v[16:17], v[0:1] op_sel_hi:[1,0]
	v_pk_mul_f32 v[14:15], v[14:15], v[0:1] op_sel_hi:[1,0]
	;; [unrolled: 1-line block ×8, first 2 shown]
	.loc	1 84 53                         ; triton_prefill_attention_aot.py:84:53
	v_readlane_b32 s0, v255, 6
	s_add_i32 s16, s16, s0
	.loc	1 135 27                        ; triton_prefill_attention_aot.py:135:27
	v_mfma_f32_32x32x8f16 v[2:17], v[24:25], v[22:23], v[2:17]
	s_waitcnt lgkmcnt(0)
	v_perm_b32 v23, v150, v147, s28
	v_perm_b32 v22, v146, v90, s28
	;; [unrolled: 1-line block ×4, first 2 shown]
	.loc	1 84 53                         ; triton_prefill_attention_aot.py:84:53
	v_readlane_b32 s0, v255, 8
	s_add_i32 s33, s33, 64
	s_add_i32 s26, s26, s0
	s_cmp_lt_i32 s33, s29
	.loc	1 135 27                        ; triton_prefill_attention_aot.py:135:27
	v_mfma_f32_32x32x8f16 v[2:17], v[22:23], v[24:25], v[2:17]
	.loc	1 130 12                        ; triton_prefill_attention_aot.py:130:12
	ds_read_u16 v0, v159 offset:4096
	ds_read_u16 v1, v159 offset:4352
	;; [unrolled: 1-line block ×8, first 2 shown]
	.loc	1 135 27                        ; triton_prefill_attention_aot.py:135:27
	s_waitcnt lgkmcnt(4)
	v_perm_b32 v23, v23, v22, s28
	v_perm_b32 v22, v1, v0, s28
	;; [unrolled: 1-line block ×4, first 2 shown]
	s_nop 1
	v_mfma_f32_32x32x8f16 v[2:17], v[22:23], v[24:25], v[2:17]
	s_waitcnt lgkmcnt(0)
	v_perm_b32 v23, v29, v28, s28
	v_perm_b32 v22, v27, v26, s28
	;; [unrolled: 1-line block ×4, first 2 shown]
	s_nop 1
	v_mfma_f32_32x32x8f16 v[2:17], v[22:23], v[24:25], v[2:17]
	.loc	1 130 12                        ; triton_prefill_attention_aot.py:130:12
	ds_read_u16 v0, v159 offset:8192
	ds_read_u16 v1, v159 offset:8448
	;; [unrolled: 1-line block ×8, first 2 shown]
	.loc	1 135 27                        ; triton_prefill_attention_aot.py:135:27
	s_waitcnt lgkmcnt(4)
	v_perm_b32 v23, v23, v22, s28
	v_perm_b32 v22, v1, v0, s28
	;; [unrolled: 1-line block ×4, first 2 shown]
	s_nop 1
	v_mfma_f32_32x32x8f16 v[2:17], v[22:23], v[24:25], v[2:17]
	s_waitcnt lgkmcnt(0)
	v_perm_b32 v23, v29, v28, s28
	v_perm_b32 v22, v27, v26, s28
	v_perm_b32 v25, v45, v44, s28
	v_perm_b32 v24, v43, v42, s28
	s_nop 1
	v_mfma_f32_32x32x8f16 v[2:17], v[22:23], v[24:25], v[2:17]
	.loc	1 130 12                        ; triton_prefill_attention_aot.py:130:12
	ds_read_u16 v0, v159 offset:12288
	ds_read_u16 v1, v159 offset:12544
	;; [unrolled: 1-line block ×8, first 2 shown]
	.loc	1 135 27                        ; triton_prefill_attention_aot.py:135:27
	s_waitcnt lgkmcnt(4)
	v_perm_b32 v23, v23, v22, s28
	v_perm_b32 v22, v1, v0, s28
	v_perm_b32 v25, v49, v48, s28
	v_perm_b32 v24, v47, v46, s28
	v_mov_b32_e32 v0, v18
	s_nop 0
	v_mfma_f32_32x32x8f16 v[2:17], v[22:23], v[24:25], v[2:17]
	s_waitcnt lgkmcnt(0)
	v_perm_b32 v25, v29, v28, s28
	v_perm_b32 v24, v27, v26, s28
.Ltmp2:
	.file	2 "/root/.local/lib/python3.13/site-packages/triton/language" "standard.py"
	.loc	2 263 15                        ; standard.py:263:15 @[ standard.py:293:36 @[ triton_prefill_attention_aot.py:121:25 ] ]
	v_add_f32_e32 v22, v19, v20
.Ltmp3:
	.loc	1 125 28                        ; triton_prefill_attention_aot.py:125:28
	v_fmac_f32_e32 v22, v182, v21
	.loc	1 135 27                        ; triton_prefill_attention_aot.py:135:27
	v_perm_b32 v21, v85, v84, s28
	v_perm_b32 v20, v83, v82, s28
	v_mov_b32_e32 v182, v22
	s_nop 0
	v_mfma_f32_32x32x8f16 v[2:17], v[24:25], v[20:21], v[2:17]
	.loc	1 84 53                         ; triton_prefill_attention_aot.py:84:53
	s_cbranch_scc0 .LBB0_102
.LBB0_38:                               ; =>This Inner Loop Header: Depth=1
	.loc	1 88 26                         ; triton_prefill_attention_aot.py:88:26
	v_add_u32_e32 v23, s33, v145
	.loc	1 111 21                        ; triton_prefill_attention_aot.py:111:21
	s_ashr_i32 s27, s26, 31
	v_mov_b32_e32 v18, 0
	.loc	1 91 23                         ; triton_prefill_attention_aot.py:91:23
	v_cmp_gt_i32_e64 s[2:3], s13, v23
	.loc	1 111 12                        ; triton_prefill_attention_aot.py:111:12
	s_mov_b64 s[0:1], exec
	v_writelane_b32 v255, s2, 9
	v_writelane_b32 v255, s3, 10
	s_and_b64 s[2:3], s[0:1], s[2:3]
	s_mov_b64 exec, s[2:3]
	s_cbranch_execz .LBB0_40
; %bb.39:                               ;   in Loop: Header=BB0_38 Depth=1
	.loc	1 0 12 is_stmt 0                ; triton_prefill_attention_aot.py:0:12
	buffer_load_dword v20, off, s[96:99], 0 ; 4-byte Folded Reload
	buffer_load_dword v21, off, s[96:99], 0 offset:4 ; 4-byte Folded Reload
	s_lshl_b64 s[2:3], s[26:27], 1
	v_mov_b32_e32 v19, s3
	s_waitcnt vmcnt(1)
	v_add_co_u32_e32 v18, vcc, s2, v20
	buffer_load_dword v20, off, s[96:99], 0 offset:8 ; 4-byte Folded Reload
	buffer_load_dword v21, off, s[96:99], 0 offset:12 ; 4-byte Folded Reload
	s_waitcnt vmcnt(0)
	v_addc_co_u32_e32 v19, vcc, v21, v19, vcc
	.loc	1 111 12                        ; triton_prefill_attention_aot.py:111:12
	global_load_ushort v18, v[18:19], off
.LBB0_40:                               ;   in Loop: Header=BB0_38 Depth=1
	.loc	1 0 12                          ; triton_prefill_attention_aot.py:0:12
	s_or_b64 exec, exec, s[0:1]
	.loc	1 88 26 is_stmt 1               ; triton_prefill_attention_aot.py:88:26
	v_add_u32_e32 v19, 4, v23
	.loc	1 91 23                         ; triton_prefill_attention_aot.py:91:23
	v_cmp_gt_i32_e64 s[2:3], s13, v19
	v_mov_b32_e32 v19, 0
	v_mov_b32_e32 v20, 0
	.loc	1 111 12                        ; triton_prefill_attention_aot.py:111:12
	s_mov_b64 s[0:1], exec
	v_writelane_b32 v255, s2, 11
	v_writelane_b32 v255, s3, 12
	s_and_b64 s[2:3], s[0:1], s[2:3]
	s_mov_b64 exec, s[2:3]
	s_cbranch_execz .LBB0_42
; %bb.41:                               ;   in Loop: Header=BB0_38 Depth=1
	.loc	1 111 21 is_stmt 0              ; triton_prefill_attention_aot.py:111:21
	buffer_load_dword v24, off, s[96:99], 0 offset:16 ; 4-byte Folded Reload
	buffer_load_dword v25, off, s[96:99], 0 offset:20 ; 4-byte Folded Reload
	s_lshl_b64 s[2:3], s[26:27], 1
	v_mov_b32_e32 v21, s3
	s_waitcnt vmcnt(1)
	v_add_co_u32_e32 v20, vcc, s2, v24
	buffer_load_dword v24, off, s[96:99], 0 offset:24 ; 4-byte Folded Reload
	buffer_load_dword v25, off, s[96:99], 0 offset:28 ; 4-byte Folded Reload
	s_waitcnt vmcnt(0)
	v_addc_co_u32_e32 v21, vcc, v25, v21, vcc
	.loc	1 111 12                        ; triton_prefill_attention_aot.py:111:12
	global_load_ushort v20, v[20:21], off
.LBB0_42:                               ;   in Loop: Header=BB0_38 Depth=1
	.loc	1 0 12                          ; triton_prefill_attention_aot.py:0:12
	s_or_b64 exec, exec, s[0:1]
	.loc	1 88 26 is_stmt 1               ; triton_prefill_attention_aot.py:88:26
	v_add_u32_e32 v21, 8, v23
	.loc	1 91 23                         ; triton_prefill_attention_aot.py:91:23
	v_cmp_gt_i32_e64 s[2:3], s13, v21
	.loc	1 111 12                        ; triton_prefill_attention_aot.py:111:12
	s_mov_b64 s[0:1], exec
	v_writelane_b32 v255, s2, 13
	v_writelane_b32 v255, s3, 14
	s_and_b64 s[2:3], s[0:1], s[2:3]
	s_mov_b64 exec, s[2:3]
	s_cbranch_execz .LBB0_44
; %bb.43:                               ;   in Loop: Header=BB0_38 Depth=1
	.loc	1 111 21 is_stmt 0              ; triton_prefill_attention_aot.py:111:21
	buffer_load_dword v24, off, s[96:99], 0 offset:32 ; 4-byte Folded Reload
	buffer_load_dword v25, off, s[96:99], 0 offset:36 ; 4-byte Folded Reload
	;; [unrolled: 1-line block ×4, first 2 shown]
	s_lshl_b64 s[2:3], s[26:27], 1
	v_mov_b32_e32 v19, s3
	s_waitcnt vmcnt(3)
	v_add_co_u32_e32 v24, vcc, s2, v24
	s_waitcnt vmcnt(0)
	v_addc_co_u32_e32 v25, vcc, v27, v19, vcc
	.loc	1 111 12                        ; triton_prefill_attention_aot.py:111:12
	global_load_ushort v19, v[24:25], off
.LBB0_44:                               ;   in Loop: Header=BB0_38 Depth=1
	.loc	1 0 12                          ; triton_prefill_attention_aot.py:0:12
	s_or_b64 exec, exec, s[0:1]
	.loc	1 88 26 is_stmt 1               ; triton_prefill_attention_aot.py:88:26
	v_add_u32_e32 v21, 12, v23
	.loc	1 91 23                         ; triton_prefill_attention_aot.py:91:23
	v_cmp_gt_i32_e64 s[2:3], s13, v21
	v_mov_b32_e32 v22, 0
	v_mov_b32_e32 v21, 0
	.loc	1 111 12                        ; triton_prefill_attention_aot.py:111:12
	s_mov_b64 s[0:1], exec
	v_writelane_b32 v255, s2, 15
	v_writelane_b32 v255, s3, 16
	s_and_b64 s[2:3], s[0:1], s[2:3]
	s_mov_b64 exec, s[2:3]
	s_cbranch_execz .LBB0_46
; %bb.45:                               ;   in Loop: Header=BB0_38 Depth=1
	.loc	1 111 21 is_stmt 0              ; triton_prefill_attention_aot.py:111:21
	buffer_load_dword v24, off, s[96:99], 0 offset:48 ; 4-byte Folded Reload
	buffer_load_dword v25, off, s[96:99], 0 offset:52 ; 4-byte Folded Reload
	;; [unrolled: 1-line block ×4, first 2 shown]
	s_lshl_b64 s[2:3], s[26:27], 1
	v_mov_b32_e32 v21, s3
	s_waitcnt vmcnt(3)
	v_add_co_u32_e32 v24, vcc, s2, v24
	s_waitcnt vmcnt(0)
	v_addc_co_u32_e32 v25, vcc, v27, v21, vcc
	.loc	1 111 12                        ; triton_prefill_attention_aot.py:111:12
	global_load_ushort v21, v[24:25], off
.LBB0_46:                               ;   in Loop: Header=BB0_38 Depth=1
	.loc	1 0 12                          ; triton_prefill_attention_aot.py:0:12
	s_or_b64 exec, exec, s[0:1]
	.loc	1 88 26 is_stmt 1               ; triton_prefill_attention_aot.py:88:26
	v_add_u32_e32 v24, 16, v23
	.loc	1 91 23                         ; triton_prefill_attention_aot.py:91:23
	v_cmp_gt_i32_e64 s[2:3], s13, v24
	.loc	1 111 12                        ; triton_prefill_attention_aot.py:111:12
	s_mov_b64 s[0:1], exec
	v_writelane_b32 v255, s2, 17
	v_writelane_b32 v255, s3, 18
	s_and_b64 s[2:3], s[0:1], s[2:3]
	s_mov_b64 exec, s[2:3]
	s_cbranch_execz .LBB0_48
; %bb.47:                               ;   in Loop: Header=BB0_38 Depth=1
	.loc	1 111 21 is_stmt 0              ; triton_prefill_attention_aot.py:111:21
	buffer_load_dword v24, off, s[96:99], 0 offset:64 ; 4-byte Folded Reload
	buffer_load_dword v25, off, s[96:99], 0 offset:68 ; 4-byte Folded Reload
	s_lshl_b64 s[2:3], s[26:27], 1
	v_mov_b32_e32 v22, s3
	s_waitcnt vmcnt(1)
	v_add_co_u32_e32 v24, vcc, s2, v24
	s_waitcnt vmcnt(0)
	v_addc_co_u32_e32 v25, vcc, v89, v22, vcc
	.loc	1 111 12                        ; triton_prefill_attention_aot.py:111:12
	global_load_ushort v22, v[24:25], off
.LBB0_48:                               ;   in Loop: Header=BB0_38 Depth=1
	.loc	1 0 12                          ; triton_prefill_attention_aot.py:0:12
	s_or_b64 exec, exec, s[0:1]
	.loc	1 88 26 is_stmt 1               ; triton_prefill_attention_aot.py:88:26
	v_add_u32_e32 v24, 20, v23
	.loc	1 91 23                         ; triton_prefill_attention_aot.py:91:23
	v_cmp_gt_i32_e64 s[2:3], s13, v24
	v_mov_b32_e32 v24, 0
	v_mov_b32_e32 v25, 0
	.loc	1 111 12                        ; triton_prefill_attention_aot.py:111:12
	s_mov_b64 s[0:1], exec
	v_writelane_b32 v255, s2, 19
	v_writelane_b32 v255, s3, 20
	s_and_b64 s[2:3], s[0:1], s[2:3]
	s_mov_b64 exec, s[2:3]
	s_cbranch_execz .LBB0_50
; %bb.49:                               ;   in Loop: Header=BB0_38 Depth=1
	.loc	1 111 21 is_stmt 0              ; triton_prefill_attention_aot.py:111:21
	s_lshl_b64 s[2:3], s[26:27], 1
	v_mov_b32_e32 v25, s3
	v_add_co_u32_e32 v26, vcc, s2, v92
	v_addc_co_u32_e32 v27, vcc, v91, v25, vcc
	.loc	1 111 12                        ; triton_prefill_attention_aot.py:111:12
	global_load_ushort v25, v[26:27], off
.LBB0_50:                               ;   in Loop: Header=BB0_38 Depth=1
	.loc	1 0 12                          ; triton_prefill_attention_aot.py:0:12
	s_or_b64 exec, exec, s[0:1]
	.loc	1 88 26 is_stmt 1               ; triton_prefill_attention_aot.py:88:26
	v_add_u32_e32 v26, 24, v23
	.loc	1 91 23                         ; triton_prefill_attention_aot.py:91:23
	v_cmp_gt_i32_e64 s[2:3], s13, v26
	.loc	1 111 12                        ; triton_prefill_attention_aot.py:111:12
	s_mov_b64 s[0:1], exec
	v_writelane_b32 v255, s2, 21
	v_writelane_b32 v255, s3, 22
	s_and_b64 s[2:3], s[0:1], s[2:3]
	s_mov_b64 exec, s[2:3]
	s_cbranch_execz .LBB0_52
; %bb.51:                               ;   in Loop: Header=BB0_38 Depth=1
	.loc	1 111 21 is_stmt 0              ; triton_prefill_attention_aot.py:111:21
	s_lshl_b64 s[2:3], s[26:27], 1
	v_mov_b32_e32 v24, s3
	v_add_co_u32_e32 v26, vcc, s2, v94
	v_addc_co_u32_e32 v27, vcc, v93, v24, vcc
	.loc	1 111 12                        ; triton_prefill_attention_aot.py:111:12
	global_load_ushort v24, v[26:27], off
.LBB0_52:                               ;   in Loop: Header=BB0_38 Depth=1
	.loc	1 0 12                          ; triton_prefill_attention_aot.py:0:12
	s_or_b64 exec, exec, s[0:1]
	.loc	1 88 26 is_stmt 1               ; triton_prefill_attention_aot.py:88:26
	v_add_u32_e32 v26, 28, v23
	.loc	1 91 23                         ; triton_prefill_attention_aot.py:91:23
	v_cmp_gt_i32_e64 s[2:3], s13, v26
	v_mov_b32_e32 v27, 0
	v_mov_b32_e32 v26, 0
	.loc	1 111 12                        ; triton_prefill_attention_aot.py:111:12
	s_mov_b64 s[0:1], exec
	v_writelane_b32 v255, s2, 23
	v_writelane_b32 v255, s3, 24
	s_and_b64 s[2:3], s[0:1], s[2:3]
	s_mov_b64 exec, s[2:3]
	s_cbranch_execz .LBB0_54
; %bb.53:                               ;   in Loop: Header=BB0_38 Depth=1
	.loc	1 111 21 is_stmt 0              ; triton_prefill_attention_aot.py:111:21
	s_lshl_b64 s[2:3], s[26:27], 1
	v_mov_b32_e32 v26, s3
	v_add_co_u32_e32 v28, vcc, s2, v96
	v_addc_co_u32_e32 v29, vcc, v95, v26, vcc
	.loc	1 111 12                        ; triton_prefill_attention_aot.py:111:12
	global_load_ushort v26, v[28:29], off
.LBB0_54:                               ;   in Loop: Header=BB0_38 Depth=1
	.loc	1 0 12                          ; triton_prefill_attention_aot.py:0:12
	s_or_b64 exec, exec, s[0:1]
	.loc	1 88 26 is_stmt 1               ; triton_prefill_attention_aot.py:88:26
	v_add_u32_e32 v28, 32, v23
	.loc	1 91 23                         ; triton_prefill_attention_aot.py:91:23
	v_cmp_gt_i32_e64 s[2:3], s13, v28
	.loc	1 111 12                        ; triton_prefill_attention_aot.py:111:12
	s_mov_b64 s[0:1], exec
	v_writelane_b32 v255, s2, 25
	v_writelane_b32 v255, s3, 26
	s_and_b64 s[2:3], s[0:1], s[2:3]
	s_mov_b64 exec, s[2:3]
	s_cbranch_execz .LBB0_56
; %bb.55:                               ;   in Loop: Header=BB0_38 Depth=1
	.loc	1 111 21 is_stmt 0              ; triton_prefill_attention_aot.py:111:21
	s_lshl_b64 s[2:3], s[26:27], 1
	v_mov_b32_e32 v27, s3
	v_add_co_u32_e32 v28, vcc, s2, v98
	v_addc_co_u32_e32 v29, vcc, v97, v27, vcc
	.loc	1 111 12                        ; triton_prefill_attention_aot.py:111:12
	global_load_ushort v27, v[28:29], off
.LBB0_56:                               ;   in Loop: Header=BB0_38 Depth=1
	.loc	1 0 12                          ; triton_prefill_attention_aot.py:0:12
	s_or_b64 exec, exec, s[0:1]
	.loc	1 88 26 is_stmt 1               ; triton_prefill_attention_aot.py:88:26
	v_add_u32_e32 v28, 36, v23
	.loc	1 91 23                         ; triton_prefill_attention_aot.py:91:23
	v_cmp_gt_i32_e64 s[2:3], s13, v28
	v_mov_b32_e32 v28, 0
	v_mov_b32_e32 v29, 0
	.loc	1 111 12                        ; triton_prefill_attention_aot.py:111:12
	s_mov_b64 s[0:1], exec
	v_writelane_b32 v255, s2, 27
	v_writelane_b32 v255, s3, 28
	s_and_b64 s[2:3], s[0:1], s[2:3]
	s_mov_b64 exec, s[2:3]
	s_cbranch_execz .LBB0_58
; %bb.57:                               ;   in Loop: Header=BB0_38 Depth=1
	.loc	1 111 21 is_stmt 0              ; triton_prefill_attention_aot.py:111:21
	s_lshl_b64 s[2:3], s[26:27], 1
	v_mov_b32_e32 v29, s3
	v_add_co_u32_e32 v30, vcc, s2, v100
	v_addc_co_u32_e32 v31, vcc, v99, v29, vcc
	.loc	1 111 12                        ; triton_prefill_attention_aot.py:111:12
	global_load_ushort v29, v[30:31], off
.LBB0_58:                               ;   in Loop: Header=BB0_38 Depth=1
	.loc	1 0 12                          ; triton_prefill_attention_aot.py:0:12
	s_or_b64 exec, exec, s[0:1]
	.loc	1 88 26 is_stmt 1               ; triton_prefill_attention_aot.py:88:26
	v_add_u32_e32 v30, 40, v23
	.loc	1 91 23                         ; triton_prefill_attention_aot.py:91:23
	v_cmp_gt_i32_e64 s[2:3], s13, v30
	.loc	1 111 12                        ; triton_prefill_attention_aot.py:111:12
	s_mov_b64 s[0:1], exec
	v_writelane_b32 v255, s2, 29
	v_writelane_b32 v255, s3, 30
	s_and_b64 s[2:3], s[0:1], s[2:3]
	s_mov_b64 exec, s[2:3]
	s_cbranch_execz .LBB0_60
; %bb.59:                               ;   in Loop: Header=BB0_38 Depth=1
	.loc	1 111 21 is_stmt 0              ; triton_prefill_attention_aot.py:111:21
	s_lshl_b64 s[2:3], s[26:27], 1
	v_mov_b32_e32 v28, s3
	v_add_co_u32_e32 v30, vcc, s2, v102
	v_addc_co_u32_e32 v31, vcc, v101, v28, vcc
	.loc	1 111 12                        ; triton_prefill_attention_aot.py:111:12
	global_load_ushort v28, v[30:31], off
.LBB0_60:                               ;   in Loop: Header=BB0_38 Depth=1
	.loc	1 0 12                          ; triton_prefill_attention_aot.py:0:12
	s_or_b64 exec, exec, s[0:1]
	.loc	1 88 26 is_stmt 1               ; triton_prefill_attention_aot.py:88:26
	v_add_u32_e32 v30, 44, v23
	.loc	1 91 23                         ; triton_prefill_attention_aot.py:91:23
	v_cmp_gt_i32_e64 s[2:3], s13, v30
	v_mov_b32_e32 v31, 0
	v_mov_b32_e32 v30, 0
	.loc	1 111 12                        ; triton_prefill_attention_aot.py:111:12
	s_mov_b64 s[0:1], exec
	v_writelane_b32 v255, s2, 31
	v_writelane_b32 v255, s3, 32
	s_and_b64 s[2:3], s[0:1], s[2:3]
	s_mov_b64 exec, s[2:3]
	s_cbranch_execz .LBB0_62
; %bb.61:                               ;   in Loop: Header=BB0_38 Depth=1
	.loc	1 111 21 is_stmt 0              ; triton_prefill_attention_aot.py:111:21
	s_lshl_b64 s[2:3], s[26:27], 1
	v_mov_b32_e32 v30, s3
	v_add_co_u32_e32 v32, vcc, s2, v104
	v_addc_co_u32_e32 v33, vcc, v103, v30, vcc
	.loc	1 111 12                        ; triton_prefill_attention_aot.py:111:12
	global_load_ushort v30, v[32:33], off
.LBB0_62:                               ;   in Loop: Header=BB0_38 Depth=1
	.loc	1 0 12                          ; triton_prefill_attention_aot.py:0:12
	s_or_b64 exec, exec, s[0:1]
	.loc	1 88 26 is_stmt 1               ; triton_prefill_attention_aot.py:88:26
	v_add_u32_e32 v32, 48, v23
	.loc	1 91 23                         ; triton_prefill_attention_aot.py:91:23
	v_cmp_gt_i32_e64 s[2:3], s13, v32
	.loc	1 111 12                        ; triton_prefill_attention_aot.py:111:12
	s_mov_b64 s[0:1], exec
	v_writelane_b32 v255, s2, 33
	v_writelane_b32 v255, s3, 34
	s_and_b64 s[2:3], s[0:1], s[2:3]
	s_mov_b64 exec, s[2:3]
	s_cbranch_execz .LBB0_64
; %bb.63:                               ;   in Loop: Header=BB0_38 Depth=1
	.loc	1 111 21 is_stmt 0              ; triton_prefill_attention_aot.py:111:21
	s_lshl_b64 s[2:3], s[26:27], 1
	v_mov_b32_e32 v31, s3
	v_add_co_u32_e32 v32, vcc, s2, v106
	v_addc_co_u32_e32 v33, vcc, v105, v31, vcc
	.loc	1 111 12                        ; triton_prefill_attention_aot.py:111:12
	global_load_ushort v31, v[32:33], off
.LBB0_64:                               ;   in Loop: Header=BB0_38 Depth=1
	.loc	1 0 12                          ; triton_prefill_attention_aot.py:0:12
	s_or_b64 exec, exec, s[0:1]
	.loc	1 88 26 is_stmt 1               ; triton_prefill_attention_aot.py:88:26
	v_add_u32_e32 v32, 52, v23
	.loc	1 91 23                         ; triton_prefill_attention_aot.py:91:23
	v_cmp_gt_i32_e64 s[2:3], s13, v32
	v_mov_b32_e32 v32, 0
	v_mov_b32_e32 v33, 0
	.loc	1 111 12                        ; triton_prefill_attention_aot.py:111:12
	s_mov_b64 s[0:1], exec
	v_writelane_b32 v255, s2, 35
	v_writelane_b32 v255, s3, 36
	s_and_b64 s[2:3], s[0:1], s[2:3]
	s_mov_b64 exec, s[2:3]
	s_cbranch_execz .LBB0_66
; %bb.65:                               ;   in Loop: Header=BB0_38 Depth=1
	.loc	1 111 21 is_stmt 0              ; triton_prefill_attention_aot.py:111:21
	s_lshl_b64 s[2:3], s[26:27], 1
	v_mov_b32_e32 v33, s3
	v_add_co_u32_e32 v34, vcc, s2, v108
	v_addc_co_u32_e32 v35, vcc, v107, v33, vcc
	.loc	1 111 12                        ; triton_prefill_attention_aot.py:111:12
	global_load_ushort v33, v[34:35], off
.LBB0_66:                               ;   in Loop: Header=BB0_38 Depth=1
	.loc	1 0 12                          ; triton_prefill_attention_aot.py:0:12
	s_or_b64 exec, exec, s[0:1]
	.loc	1 88 26 is_stmt 1               ; triton_prefill_attention_aot.py:88:26
	v_add_u32_e32 v34, 56, v23
	.loc	1 91 23                         ; triton_prefill_attention_aot.py:91:23
	v_cmp_gt_i32_e64 s[2:3], s13, v34
	.loc	1 111 12                        ; triton_prefill_attention_aot.py:111:12
	s_mov_b64 s[0:1], exec
	v_writelane_b32 v255, s2, 37
	v_writelane_b32 v255, s3, 38
	s_and_b64 s[2:3], s[0:1], s[2:3]
	s_mov_b64 exec, s[2:3]
	s_cbranch_execz .LBB0_68
; %bb.67:                               ;   in Loop: Header=BB0_38 Depth=1
	.loc	1 111 21 is_stmt 0              ; triton_prefill_attention_aot.py:111:21
	s_lshl_b64 s[2:3], s[26:27], 1
	v_mov_b32_e32 v32, s3
	v_add_co_u32_e32 v34, vcc, s2, v110
	v_addc_co_u32_e32 v35, vcc, v109, v32, vcc
	.loc	1 111 12                        ; triton_prefill_attention_aot.py:111:12
	global_load_ushort v32, v[34:35], off
.LBB0_68:                               ;   in Loop: Header=BB0_38 Depth=1
	.loc	1 0 12                          ; triton_prefill_attention_aot.py:0:12
	s_or_b64 exec, exec, s[0:1]
	.loc	1 91 23 is_stmt 1               ; triton_prefill_attention_aot.py:91:23
	v_add_u32_e32 v23, 60, v23
	v_cmp_gt_i32_e64 s[30:31], s13, v23
	v_mov_b32_e32 v183, 0
	v_mov_b32_e32 v23, 0
	.loc	1 111 12                        ; triton_prefill_attention_aot.py:111:12
	s_and_saveexec_b64 s[0:1], s[30:31]
	s_cbranch_execz .LBB0_70
; %bb.69:                               ;   in Loop: Header=BB0_38 Depth=1
	.loc	1 111 21 is_stmt 0              ; triton_prefill_attention_aot.py:111:21
	s_lshl_b64 s[2:3], s[26:27], 1
	v_mov_b32_e32 v23, s3
	v_add_co_u32_e32 v34, vcc, s2, v112
	v_addc_co_u32_e32 v35, vcc, v111, v23, vcc
	.loc	1 111 12                        ; triton_prefill_attention_aot.py:111:12
	global_load_ushort v23, v[34:35], off
.LBB0_70:                               ;   in Loop: Header=BB0_38 Depth=1
	.loc	1 0 12                          ; triton_prefill_attention_aot.py:0:12
	s_or_b64 exec, exec, s[0:1]
	.loc	1 111 12                        ; triton_prefill_attention_aot.py:111:12
	s_waitcnt lgkmcnt(0)
	s_barrier
	s_waitcnt vmcnt(0)
	ds_write_b16 v153, v18
	ds_write_b16 v153, v22 offset:4096
	ds_write_b16 v153, v27 offset:8192
	;; [unrolled: 1-line block ×15, first 2 shown]
	s_waitcnt lgkmcnt(0)
	s_barrier
	ds_read2_b64 v[184:187], v162 offset1:16
	.loc	1 88 26 is_stmt 1               ; triton_prefill_attention_aot.py:88:26
	v_add_u32_e32 v34, s33, v149
	v_add_u32_e32 v35, 1, v34
	;; [unrolled: 1-line block ×32, first 2 shown]
	.loc	1 91 23                         ; triton_prefill_attention_aot.py:91:23
	v_cmp_gt_i32_e32 vcc, s13, v34
	v_cmp_gt_i32_e64 s[76:77], s13, v35
	v_cmp_gt_i32_e64 s[74:75], s13, v36
	;; [unrolled: 1-line block ×10, first 2 shown]
	.loc	1 94 29                         ; triton_prefill_attention_aot.py:94:29
	v_cmp_ge_i32_e64 s[18:19], v160, v34
	v_cmp_gt_i32_e64 s[86:87], v160, v34
	v_cmp_ge_i32_e64 s[88:89], v160, v36
	v_cmp_ge_i32_e64 s[90:91], v160, v37
	;; [unrolled: 1-line block ×9, first 2 shown]
	.loc	1 116 23                        ; triton_prefill_attention_aot.py:116:23
	s_waitcnt lgkmcnt(0)
	v_mfma_f32_32x32x8f16 v[34:49], v[184:185], v[50:51], 0
	.loc	1 111 12                        ; triton_prefill_attention_aot.py:111:12
	v_add_u32_e32 v18, 0x2000, v162
	ds_read2_b64 v[188:191], v18 offset1:16
	ds_read2_b64 v[192:195], v163 offset1:16
	v_add_u32_e32 v184, 0x2000, v163
	ds_read2_b64 v[196:199], v184 offset1:16
	ds_read2_b64 v[200:203], v164 offset1:16
	;; [unrolled: 3-line block ×5, first 2 shown]
	v_add_u32_e32 v184, 0x2000, v167
	.loc	1 116 23                        ; triton_prefill_attention_aot.py:116:23
	s_waitcnt lgkmcnt(9)
	v_mfma_f32_32x32x8f16 v[18:33], v[188:189], v[50:51], 0
	.loc	1 111 12                        ; triton_prefill_attention_aot.py:111:12
	ds_read2_b64 v[228:231], v184 offset1:16
	ds_read2_b64 v[232:235], v168 offset1:16
	v_add_u32_e32 v184, 0x2000, v168
	ds_read2_b64 v[236:239], v184 offset1:16
	ds_read2_b64 v[240:243], v169 offset1:16
	v_add_u32_e32 v184, 0x2000, v169
	ds_read2_b64 v[244:247], v184 offset1:16
	.loc	1 94 20                         ; triton_prefill_attention_aot.py:94:20
	s_and_b64 vcc, vcc, s[18:19]
	.loc	1 91 23                         ; triton_prefill_attention_aot.py:91:23
	v_cmp_gt_i32_e64 s[22:23], s13, v248
	.loc	1 94 29                         ; triton_prefill_attention_aot.py:94:29
	v_cmp_ge_i32_e64 s[18:19], v160, v248
	.loc	1 91 23                         ; triton_prefill_attention_aot.py:91:23
	v_cmp_gt_i32_e64 s[14:15], s13, v249
	v_cmp_gt_i32_e64 s[48:49], s13, v1
	;; [unrolled: 1-line block ×7, first 2 shown]
	.loc	1 116 23                        ; triton_prefill_attention_aot.py:116:23
	s_waitcnt lgkmcnt(13)
	v_mfma_f32_32x32x8f16 v[34:49], v[192:193], v[54:55], v[34:49]
	.loc	1 91 23                         ; triton_prefill_attention_aot.py:91:23
	v_cmp_gt_i32_e64 s[60:61], s13, v150
	v_cmp_gt_i32_e64 s[58:59], s13, v152
	v_cmp_gt_i32_e64 s[56:57], s13, v147
	v_cmp_gt_i32_e64 s[54:55], s13, v151
	v_cmp_gt_i32_e64 s[52:53], s13, v146
	v_cmp_gt_i32_e64 s[50:51], s13, v82
	v_cmp_gt_i32_e64 s[46:47], s13, v84
	v_cmp_gt_i32_e64 s[44:45], s13, v83
	v_cmp_gt_i32_e64 s[42:43], s13, v86
	v_cmp_gt_i32_e64 s[40:41], s13, v85
	v_cmp_gt_i32_e64 s[38:39], s13, v88
	v_cmp_gt_i32_e64 s[36:37], s13, v87
	v_cmp_gt_i32_e64 s[34:35], s13, v90
	.loc	1 127 20                        ; triton_prefill_attention_aot.py:127:20
	s_waitcnt lgkmcnt(0)
	s_barrier
	.loc	1 116 23                        ; triton_prefill_attention_aot.py:116:23
	v_mfma_f32_32x32x8f16 v[18:33], v[196:197], v[54:55], v[18:33]
	.loc	1 130 21                        ; triton_prefill_attention_aot.py:130:21
	s_ashr_i32 s17, s16, 31
	.loc	1 116 23                        ; triton_prefill_attention_aot.py:116:23
	v_mfma_f32_32x32x8f16 v[34:49], v[200:201], v[58:59], v[34:49]
	v_mfma_f32_32x32x8f16 v[18:33], v[204:205], v[58:59], v[18:33]
	;; [unrolled: 1-line block ×28, first 2 shown]
	.loc	1 117 33                        ; triton_prefill_attention_aot.py:117:33
	s_nop 15
	s_nop 1
	v_mul_f32_e32 v34, s12, v34
	.loc	1 117 43 is_stmt 0              ; triton_prefill_attention_aot.py:117:43
	v_cndmask_b32_e32 v34, v181, v34, vcc
	.loc	1 117 33                        ; triton_prefill_attention_aot.py:117:33
	v_mul_f32_e32 v35, s12, v35
	.loc	1 94 20 is_stmt 1               ; triton_prefill_attention_aot.py:94:20
	s_and_b64 vcc, s[76:77], s[86:87]
	.loc	1 117 43                        ; triton_prefill_attention_aot.py:117:43
	v_cndmask_b32_e32 v35, v181, v35, vcc
	.loc	1 117 33 is_stmt 0              ; triton_prefill_attention_aot.py:117:33
	v_mul_f32_e32 v36, s12, v36
	.loc	1 94 20 is_stmt 1               ; triton_prefill_attention_aot.py:94:20
	s_and_b64 vcc, s[74:75], s[88:89]
	.loc	1 117 33                        ; triton_prefill_attention_aot.py:117:33
	v_mul_f32_e32 v37, s12, v37
	.loc	1 117 43 is_stmt 0              ; triton_prefill_attention_aot.py:117:43
	v_cndmask_b32_e32 v36, v181, v36, vcc
	.loc	1 94 20 is_stmt 1               ; triton_prefill_attention_aot.py:94:20
	s_and_b64 vcc, s[72:73], s[90:91]
	.loc	1 117 43                        ; triton_prefill_attention_aot.py:117:43
	v_cndmask_b32_e32 v37, v181, v37, vcc
	.loc	1 117 33 is_stmt 0              ; triton_prefill_attention_aot.py:117:33
	v_mul_f32_e32 v38, s12, v38
	.loc	1 94 20 is_stmt 1               ; triton_prefill_attention_aot.py:94:20
	s_and_b64 vcc, s[24:25], s[92:93]
	.loc	1 117 33                        ; triton_prefill_attention_aot.py:117:33
	v_mul_f32_e32 v39, s12, v39
	.loc	1 117 43 is_stmt 0              ; triton_prefill_attention_aot.py:117:43
	v_cndmask_b32_e32 v38, v181, v38, vcc
	;; [unrolled: 12-line block ×4, first 2 shown]
	.loc	1 94 20 is_stmt 1               ; triton_prefill_attention_aot.py:94:20
	s_and_b64 vcc, s[2:3], s[80:81]
	.loc	1 117 43                        ; triton_prefill_attention_aot.py:117:43
	v_cndmask_b32_e32 v43, v181, v43, vcc
	.loc	1 117 33 is_stmt 0              ; triton_prefill_attention_aot.py:117:33
	v_mul_f32_e32 v44, s12, v44
	.loc	1 94 20 is_stmt 1               ; triton_prefill_attention_aot.py:94:20
	s_and_b64 vcc, s[0:1], s[78:79]
	.loc	1 117 33                        ; triton_prefill_attention_aot.py:117:33
	v_mul_f32_e32 v45, s12, v45
	.loc	1 94 29                         ; triton_prefill_attention_aot.py:94:29
	v_cmp_ge_i32_e64 s[20:21], v160, v249
	v_cmp_ge_i32_e64 s[94:95], v160, v1
	.loc	1 117 33                        ; triton_prefill_attention_aot.py:117:33
	v_mul_f32_e32 v1, s12, v18
	v_mul_f32_e32 v18, s12, v19
	v_mul_f32_e32 v19, s12, v20
	v_mul_f32_e32 v20, s12, v21
	v_mul_f32_e32 v21, s12, v22
	v_mul_f32_e32 v22, s12, v23
	v_mul_f32_e32 v23, s12, v24
	v_mul_f32_e32 v24, s12, v25
	v_mul_f32_e32 v25, s12, v26
	v_mul_f32_e32 v26, s12, v27
	v_mul_f32_e32 v27, s12, v28
	v_mul_f32_e32 v28, s12, v29
	v_mul_f32_e32 v29, s12, v30
	v_mul_f32_e32 v30, s12, v31
	v_mul_f32_e32 v31, s12, v32
	v_mul_f32_e32 v32, s12, v33
	.loc	1 117 43 is_stmt 0              ; triton_prefill_attention_aot.py:117:43
	v_cndmask_b32_e32 v33, v181, v44, vcc
	.loc	1 94 20 is_stmt 1               ; triton_prefill_attention_aot.py:94:20
	s_and_b64 vcc, s[22:23], s[18:19]
	.loc	1 94 29 is_stmt 0               ; triton_prefill_attention_aot.py:94:29
	v_cmp_ge_i32_e64 s[72:73], v160, v250
	.loc	1 117 33 is_stmt 1              ; triton_prefill_attention_aot.py:117:33
	v_mul_f32_e32 v46, s12, v46
	.loc	1 117 43 is_stmt 0              ; triton_prefill_attention_aot.py:117:43
	v_cndmask_b32_e32 v44, v181, v45, vcc
	.loc	1 94 20 is_stmt 1               ; triton_prefill_attention_aot.py:94:20
	s_and_b64 vcc, s[14:15], s[20:21]
	.loc	1 117 33                        ; triton_prefill_attention_aot.py:117:33
	v_mul_f32_e32 v47, s12, v47
	.loc	1 94 29                         ; triton_prefill_attention_aot.py:94:29
	v_cmp_ge_i32_e64 s[76:77], v160, v251
	.loc	1 117 43                        ; triton_prefill_attention_aot.py:117:43
	v_cndmask_b32_e32 v45, v181, v46, vcc
	.loc	1 94 20                         ; triton_prefill_attention_aot.py:94:20
	s_and_b64 vcc, s[70:71], s[72:73]
	.loc	1 94 29 is_stmt 0               ; triton_prefill_attention_aot.py:94:29
	v_cmp_ge_i32_e64 s[74:75], v160, v252
	.loc	1 117 33 is_stmt 1              ; triton_prefill_attention_aot.py:117:33
	v_mul_f32_e32 v48, s12, v48
	.loc	1 117 43 is_stmt 0              ; triton_prefill_attention_aot.py:117:43
	v_cndmask_b32_e32 v46, v181, v47, vcc
	.loc	1 94 20 is_stmt 1               ; triton_prefill_attention_aot.py:94:20
	s_and_b64 vcc, s[68:69], s[76:77]
	.loc	1 117 33                        ; triton_prefill_attention_aot.py:117:33
	v_mul_f32_e32 v49, s12, v49
	.loc	1 94 29                         ; triton_prefill_attention_aot.py:94:29
	v_cmp_ge_i32_e64 s[78:79], v160, v253
	.loc	1 117 43                        ; triton_prefill_attention_aot.py:117:43
	v_cndmask_b32_e32 v47, v181, v48, vcc
	.loc	1 94 20                         ; triton_prefill_attention_aot.py:94:20
	s_and_b64 vcc, s[66:67], s[74:75]
	.loc	1 94 29 is_stmt 0               ; triton_prefill_attention_aot.py:94:29
	v_cmp_ge_i32_e64 s[24:25], v160, v254
	.loc	1 117 43 is_stmt 1              ; triton_prefill_attention_aot.py:117:43
	v_cndmask_b32_e32 v48, v181, v49, vcc
	.loc	1 94 20                         ; triton_prefill_attention_aot.py:94:20
	s_and_b64 vcc, s[64:65], s[78:79]
	.loc	1 94 29 is_stmt 0               ; triton_prefill_attention_aot.py:94:29
	v_cmp_ge_i32_e64 s[10:11], v160, v150
	.loc	1 117 43 is_stmt 1              ; triton_prefill_attention_aot.py:117:43
	;; [unrolled: 6-line block ×3, first 2 shown]
	v_cndmask_b32_e32 v49, v181, v18, vcc
	.loc	1 94 20                         ; triton_prefill_attention_aot.py:94:20
	s_and_b64 vcc, s[60:61], s[10:11]
.Ltmp4:
	.loc	2 170 27                        ; standard.py:170:27 @[ standard.py:191:40 @[ triton_prefill_attention_aot.py:118:42 ] ]
	v_max_f32_e32 v18, v34, v35
.Ltmp5:
	.loc	1 94 29                         ; triton_prefill_attention_aot.py:94:29
	v_cmp_ge_i32_e64 s[6:7], v160, v147
	.loc	1 117 43                        ; triton_prefill_attention_aot.py:117:43
	v_cndmask_b32_e32 v19, v181, v19, vcc
	.loc	1 94 20                         ; triton_prefill_attention_aot.py:94:20
	s_and_b64 vcc, s[58:59], s[8:9]
.Ltmp6:
	.loc	2 170 27                        ; standard.py:170:27 @[ standard.py:191:40 @[ triton_prefill_attention_aot.py:118:42 ] ]
	v_max3_f32 v18, v18, v36, v37
.Ltmp7:
	.loc	1 94 29                         ; triton_prefill_attention_aot.py:94:29
	v_cmp_ge_i32_e64 s[2:3], v160, v151
	.loc	1 117 43                        ; triton_prefill_attention_aot.py:117:43
	v_cndmask_b32_e32 v20, v181, v20, vcc
	.loc	1 94 20                         ; triton_prefill_attention_aot.py:94:20
	s_and_b64 vcc, s[56:57], s[6:7]
.Ltmp8:
	.loc	2 170 27                        ; standard.py:170:27 @[ standard.py:191:40 @[ triton_prefill_attention_aot.py:118:42 ] ]
	v_max3_f32 v18, v18, v38, v39
.Ltmp9:
	.loc	1 94 29                         ; triton_prefill_attention_aot.py:94:29
	v_cmp_ge_i32_e64 s[0:1], v160, v146
	.loc	1 117 43                        ; triton_prefill_attention_aot.py:117:43
	v_cndmask_b32_e32 v21, v181, v21, vcc
	.loc	1 94 20                         ; triton_prefill_attention_aot.py:94:20
	s_and_b64 vcc, s[54:55], s[2:3]
.Ltmp10:
	.loc	2 170 27                        ; standard.py:170:27 @[ standard.py:191:40 @[ triton_prefill_attention_aot.py:118:42 ] ]
	v_max3_f32 v18, v18, v40, v41
.Ltmp11:
	.loc	1 94 29                         ; triton_prefill_attention_aot.py:94:29
	v_cmp_ge_i32_e64 s[4:5], v160, v82
	.loc	1 117 43                        ; triton_prefill_attention_aot.py:117:43
	v_cndmask_b32_e32 v22, v181, v22, vcc
	.loc	1 94 20                         ; triton_prefill_attention_aot.py:94:20
	s_and_b64 vcc, s[52:53], s[0:1]
.Ltmp12:
	.loc	2 170 27                        ; standard.py:170:27 @[ standard.py:191:40 @[ triton_prefill_attention_aot.py:118:42 ] ]
	v_max3_f32 v18, v18, v42, v43
.Ltmp13:
	.loc	1 117 43                        ; triton_prefill_attention_aot.py:117:43
	v_cndmask_b32_e32 v23, v181, v23, vcc
	.loc	1 94 20                         ; triton_prefill_attention_aot.py:94:20
	s_and_b64 vcc, s[50:51], s[4:5]
.Ltmp14:
	.loc	2 170 27                        ; standard.py:170:27 @[ standard.py:191:40 @[ triton_prefill_attention_aot.py:118:42 ] ]
	v_max3_f32 v18, v18, v33, v44
.Ltmp15:
	.loc	1 94 29                         ; triton_prefill_attention_aot.py:94:29
	v_cmp_ge_i32_e64 s[92:93], v160, v84
	.loc	1 117 43                        ; triton_prefill_attention_aot.py:117:43
	v_cndmask_b32_e32 v24, v181, v24, vcc
	.loc	1 94 20                         ; triton_prefill_attention_aot.py:94:20
	s_and_b64 vcc, s[48:49], s[94:95]
.Ltmp16:
	.loc	2 170 27                        ; standard.py:170:27 @[ standard.py:191:40 @[ triton_prefill_attention_aot.py:118:42 ] ]
	v_max3_f32 v18, v18, v45, v46
.Ltmp17:
	.loc	1 94 29                         ; triton_prefill_attention_aot.py:94:29
	v_cmp_ge_i32_e64 s[90:91], v160, v83
	.loc	1 117 43                        ; triton_prefill_attention_aot.py:117:43
	v_cndmask_b32_e32 v25, v181, v25, vcc
	.loc	1 94 20                         ; triton_prefill_attention_aot.py:94:20
	s_and_b64 vcc, s[46:47], s[92:93]
.Ltmp18:
	.loc	2 170 27                        ; standard.py:170:27 @[ standard.py:191:40 @[ triton_prefill_attention_aot.py:118:42 ] ]
	v_max3_f32 v18, v18, v47, v48
.Ltmp19:
	.loc	1 94 29                         ; triton_prefill_attention_aot.py:94:29
	v_cmp_ge_i32_e64 s[88:89], v160, v86
	.loc	1 117 43                        ; triton_prefill_attention_aot.py:117:43
	v_cndmask_b32_e32 v26, v181, v26, vcc
	.loc	1 94 20                         ; triton_prefill_attention_aot.py:94:20
	s_and_b64 vcc, s[44:45], s[90:91]
.Ltmp20:
	.loc	2 170 27                        ; standard.py:170:27 @[ standard.py:191:40 @[ triton_prefill_attention_aot.py:118:42 ] ]
	v_max3_f32 v18, v18, v1, v49
.Ltmp21:
	.loc	1 94 29                         ; triton_prefill_attention_aot.py:94:29
	v_cmp_ge_i32_e64 s[86:87], v160, v85
	.loc	1 117 43                        ; triton_prefill_attention_aot.py:117:43
	v_cndmask_b32_e32 v27, v181, v27, vcc
	.loc	1 94 20                         ; triton_prefill_attention_aot.py:94:20
	s_and_b64 vcc, s[42:43], s[88:89]
.Ltmp22:
	.loc	2 170 27                        ; standard.py:170:27 @[ standard.py:191:40 @[ triton_prefill_attention_aot.py:118:42 ] ]
	v_max3_f32 v18, v18, v19, v20
.Ltmp23:
	.loc	1 94 29                         ; triton_prefill_attention_aot.py:94:29
	v_cmp_ge_i32_e64 s[84:85], v160, v88
	.loc	1 117 43                        ; triton_prefill_attention_aot.py:117:43
	v_cndmask_b32_e32 v28, v181, v28, vcc
	.loc	1 94 20                         ; triton_prefill_attention_aot.py:94:20
	s_and_b64 vcc, s[40:41], s[86:87]
.Ltmp24:
	.loc	2 170 27                        ; standard.py:170:27 @[ standard.py:191:40 @[ triton_prefill_attention_aot.py:118:42 ] ]
	v_max3_f32 v18, v18, v21, v22
.Ltmp25:
	.loc	1 94 29                         ; triton_prefill_attention_aot.py:94:29
	v_cmp_ge_i32_e64 s[82:83], v160, v87
	.loc	1 117 43                        ; triton_prefill_attention_aot.py:117:43
	v_cndmask_b32_e32 v29, v181, v29, vcc
	.loc	1 94 20                         ; triton_prefill_attention_aot.py:94:20
	s_and_b64 vcc, s[38:39], s[84:85]
.Ltmp26:
	.loc	2 170 27                        ; standard.py:170:27 @[ standard.py:191:40 @[ triton_prefill_attention_aot.py:118:42 ] ]
	v_max3_f32 v18, v18, v23, v24
.Ltmp27:
	.loc	1 94 29                         ; triton_prefill_attention_aot.py:94:29
	v_cmp_ge_i32_e64 s[80:81], v160, v90
	.loc	1 117 43                        ; triton_prefill_attention_aot.py:117:43
	v_cndmask_b32_e32 v30, v181, v30, vcc
	.loc	1 94 20                         ; triton_prefill_attention_aot.py:94:20
	s_and_b64 vcc, s[36:37], s[82:83]
.Ltmp28:
	.loc	2 170 27                        ; standard.py:170:27 @[ standard.py:191:40 @[ triton_prefill_attention_aot.py:118:42 ] ]
	v_max3_f32 v18, v18, v25, v26
.Ltmp29:
	.loc	1 117 43                        ; triton_prefill_attention_aot.py:117:43
	v_cndmask_b32_e32 v31, v181, v31, vcc
	.loc	1 94 20                         ; triton_prefill_attention_aot.py:94:20
	s_and_b64 vcc, s[34:35], s[80:81]
.Ltmp30:
	.loc	2 170 27                        ; standard.py:170:27 @[ standard.py:191:40 @[ triton_prefill_attention_aot.py:118:42 ] ]
	v_max3_f32 v18, v18, v27, v28
.Ltmp31:
	.loc	1 117 43                        ; triton_prefill_attention_aot.py:117:43
	v_cndmask_b32_e32 v32, v181, v32, vcc
.Ltmp32:
	.loc	2 170 27                        ; standard.py:170:27 @[ standard.py:191:40 @[ triton_prefill_attention_aot.py:118:42 ] ]
	v_max3_f32 v18, v18, v29, v30
	v_max3_f32 v18, v18, v31, v32
.Ltmp33:
	.loc	2 191 40                        ; standard.py:191:40 @[ triton_prefill_attention_aot.py:118:42 ]
	ds_bpermute_b32 v82, v161, v18
.Ltmp34:
	.loc	1 118 31                        ; triton_prefill_attention_aot.py:118:31
	s_waitcnt lgkmcnt(0)
	v_max3_f32 v18, v0, v18, v82
	.loc	1 119 14                        ; triton_prefill_attention_aot.py:119:14
	v_sub_f32_e32 v34, v34, v18
	v_sub_f32_e32 v35, v35, v18
	;; [unrolled: 1-line block ×5, first 2 shown]
	.loc	1 120 25                        ; triton_prefill_attention_aot.py:120:25
	v_exp_f32_e32 v22, v34
	v_exp_f32_e32 v23, v35
	.loc	1 119 14                        ; triton_prefill_attention_aot.py:119:14
	v_sub_f32_e32 v37, v37, v18
	v_sub_f32_e32 v84, v24, v18
	.loc	1 120 25                        ; triton_prefill_attention_aot.py:120:25
	v_exp_f32_e32 v24, v36
	.loc	1 119 14                        ; triton_prefill_attention_aot.py:119:14
	v_sub_f32_e32 v38, v38, v18
	v_sub_f32_e32 v85, v25, v18
	.loc	1 120 25                        ; triton_prefill_attention_aot.py:120:25
	v_exp_f32_e32 v25, v37
	.loc	1 119 14                        ; triton_prefill_attention_aot.py:119:14
	v_sub_f32_e32 v39, v39, v18
	v_sub_f32_e32 v1, v1, v18
	;; [unrolled: 1-line block ×3, first 2 shown]
	.loc	1 120 25                        ; triton_prefill_attention_aot.py:120:25
	v_exp_f32_e32 v26, v38
	.loc	1 119 14                        ; triton_prefill_attention_aot.py:119:14
	v_sub_f32_e32 v40, v40, v18
	v_sub_f32_e32 v87, v27, v18
	.loc	1 120 25                        ; triton_prefill_attention_aot.py:120:25
	v_exp_f32_e32 v27, v39
	v_exp_f32_e32 v38, v1
.Ltmp35:
	.loc	2 263 15                        ; standard.py:263:15 @[ standard.py:293:36 @[ triton_prefill_attention_aot.py:121:25 ] ]
	v_add_f32_e32 v1, v22, v23
.Ltmp36:
	.loc	1 119 14                        ; triton_prefill_attention_aot.py:119:14
	v_sub_f32_e32 v41, v41, v18
	v_sub_f32_e32 v88, v28, v18
	.loc	1 120 25                        ; triton_prefill_attention_aot.py:120:25
	v_exp_f32_e32 v28, v40
.Ltmp37:
	.loc	2 263 15                        ; standard.py:263:15 @[ standard.py:293:36 @[ triton_prefill_attention_aot.py:121:25 ] ]
	v_add_f32_e32 v1, v24, v1
.Ltmp38:
	.loc	1 119 14                        ; triton_prefill_attention_aot.py:119:14
	v_sub_f32_e32 v42, v42, v18
	v_sub_f32_e32 v90, v29, v18
	.loc	1 120 25                        ; triton_prefill_attention_aot.py:120:25
	v_exp_f32_e32 v29, v41
.Ltmp39:
	.loc	2 263 15                        ; standard.py:263:15 @[ standard.py:293:36 @[ triton_prefill_attention_aot.py:121:25 ] ]
	v_add_f32_e32 v1, v25, v1
.Ltmp40:
	.loc	1 119 14                        ; triton_prefill_attention_aot.py:119:14
	v_sub_f32_e32 v43, v43, v18
	v_sub_f32_e32 v146, v30, v18
	.loc	1 120 25                        ; triton_prefill_attention_aot.py:120:25
	v_exp_f32_e32 v30, v42
.Ltmp41:
	.loc	2 263 15                        ; standard.py:263:15 @[ standard.py:293:36 @[ triton_prefill_attention_aot.py:121:25 ] ]
	v_add_f32_e32 v1, v26, v1
.Ltmp42:
	.loc	1 119 14                        ; triton_prefill_attention_aot.py:119:14
	v_sub_f32_e32 v33, v33, v18
	v_sub_f32_e32 v147, v31, v18
	.loc	1 120 25                        ; triton_prefill_attention_aot.py:120:25
	v_exp_f32_e32 v31, v43
.Ltmp43:
	.loc	2 263 15                        ; standard.py:263:15 @[ standard.py:293:36 @[ triton_prefill_attention_aot.py:121:25 ] ]
	v_add_f32_e32 v1, v27, v1
.Ltmp44:
	.loc	1 119 14                        ; triton_prefill_attention_aot.py:119:14
	v_sub_f32_e32 v44, v44, v18
	v_sub_f32_e32 v150, v32, v18
	.loc	1 120 25                        ; triton_prefill_attention_aot.py:120:25
	v_exp_f32_e32 v32, v33
.Ltmp45:
	.loc	2 263 15                        ; standard.py:263:15 @[ standard.py:293:36 @[ triton_prefill_attention_aot.py:121:25 ] ]
	v_add_f32_e32 v1, v28, v1
.Ltmp46:
	.loc	1 119 14                        ; triton_prefill_attention_aot.py:119:14
	v_sub_f32_e32 v45, v45, v18
	.loc	1 120 25                        ; triton_prefill_attention_aot.py:120:25
	v_exp_f32_e32 v33, v44
.Ltmp47:
	.loc	2 263 15                        ; standard.py:263:15 @[ standard.py:293:36 @[ triton_prefill_attention_aot.py:121:25 ] ]
	v_add_f32_e32 v1, v29, v1
.Ltmp48:
	.loc	1 119 14                        ; triton_prefill_attention_aot.py:119:14
	v_sub_f32_e32 v46, v46, v18
	.loc	1 120 25                        ; triton_prefill_attention_aot.py:120:25
	v_exp_f32_e32 v34, v45
.Ltmp49:
	.loc	2 263 15                        ; standard.py:263:15 @[ standard.py:293:36 @[ triton_prefill_attention_aot.py:121:25 ] ]
	v_add_f32_e32 v1, v30, v1
.Ltmp50:
	.loc	1 119 14                        ; triton_prefill_attention_aot.py:119:14
	v_sub_f32_e32 v47, v47, v18
	.loc	1 120 25                        ; triton_prefill_attention_aot.py:120:25
	v_exp_f32_e32 v35, v46
.Ltmp51:
	.loc	2 263 15                        ; standard.py:263:15 @[ standard.py:293:36 @[ triton_prefill_attention_aot.py:121:25 ] ]
	v_add_f32_e32 v1, v31, v1
.Ltmp52:
	.loc	1 119 14                        ; triton_prefill_attention_aot.py:119:14
	v_sub_f32_e32 v48, v48, v18
	.loc	1 120 25                        ; triton_prefill_attention_aot.py:120:25
	v_exp_f32_e32 v36, v47
.Ltmp53:
	.loc	2 263 15                        ; standard.py:263:15 @[ standard.py:293:36 @[ triton_prefill_attention_aot.py:121:25 ] ]
	v_add_f32_e32 v1, v32, v1
.Ltmp54:
	.loc	1 120 25                        ; triton_prefill_attention_aot.py:120:25
	v_exp_f32_e32 v37, v48
.Ltmp55:
	.loc	2 263 15                        ; standard.py:263:15 @[ standard.py:293:36 @[ triton_prefill_attention_aot.py:121:25 ] ]
	v_add_f32_e32 v1, v33, v1
.Ltmp56:
	.loc	1 119 14                        ; triton_prefill_attention_aot.py:119:14
	v_sub_f32_e32 v49, v49, v18
.Ltmp57:
	.loc	2 263 15                        ; standard.py:263:15 @[ standard.py:293:36 @[ triton_prefill_attention_aot.py:121:25 ] ]
	v_add_f32_e32 v1, v34, v1
.Ltmp58:
	.loc	1 119 14                        ; triton_prefill_attention_aot.py:119:14
	v_sub_f32_e32 v19, v19, v18
	.loc	1 120 25                        ; triton_prefill_attention_aot.py:120:25
	v_exp_f32_e32 v39, v49
.Ltmp59:
	.loc	2 263 15                        ; standard.py:263:15 @[ standard.py:293:36 @[ triton_prefill_attention_aot.py:121:25 ] ]
	v_add_f32_e32 v1, v35, v1
.Ltmp60:
	.loc	1 119 14                        ; triton_prefill_attention_aot.py:119:14
	v_sub_f32_e32 v20, v20, v18
	.loc	1 120 25                        ; triton_prefill_attention_aot.py:120:25
	v_exp_f32_e32 v40, v19
.Ltmp61:
	.loc	2 263 15                        ; standard.py:263:15 @[ standard.py:293:36 @[ triton_prefill_attention_aot.py:121:25 ] ]
	v_add_f32_e32 v1, v36, v1
.Ltmp62:
	.loc	1 119 14                        ; triton_prefill_attention_aot.py:119:14
	v_sub_f32_e32 v21, v21, v18
	.loc	1 120 25                        ; triton_prefill_attention_aot.py:120:25
	v_exp_f32_e32 v41, v20
.Ltmp63:
	.loc	2 263 15                        ; standard.py:263:15 @[ standard.py:293:36 @[ triton_prefill_attention_aot.py:121:25 ] ]
	v_add_f32_e32 v1, v37, v1
.Ltmp64:
	.loc	1 120 25                        ; triton_prefill_attention_aot.py:120:25
	v_exp_f32_e32 v42, v21
.Ltmp65:
	.loc	2 263 15                        ; standard.py:263:15 @[ standard.py:293:36 @[ triton_prefill_attention_aot.py:121:25 ] ]
	v_add_f32_e32 v1, v38, v1
.Ltmp66:
	.loc	1 120 25                        ; triton_prefill_attention_aot.py:120:25
	v_exp_f32_e32 v43, v82
.Ltmp67:
	.loc	2 263 15                        ; standard.py:263:15 @[ standard.py:293:36 @[ triton_prefill_attention_aot.py:121:25 ] ]
	v_add_f32_e32 v1, v39, v1
.Ltmp68:
	.loc	1 120 25                        ; triton_prefill_attention_aot.py:120:25
	v_exp_f32_e32 v44, v83
.Ltmp69:
	.loc	2 263 15                        ; standard.py:263:15 @[ standard.py:293:36 @[ triton_prefill_attention_aot.py:121:25 ] ]
	v_add_f32_e32 v1, v40, v1
.Ltmp70:
	.loc	1 120 25                        ; triton_prefill_attention_aot.py:120:25
	v_exp_f32_e32 v45, v84
.Ltmp71:
	.loc	2 263 15                        ; standard.py:263:15 @[ standard.py:293:36 @[ triton_prefill_attention_aot.py:121:25 ] ]
	v_add_f32_e32 v1, v41, v1
.Ltmp72:
	.loc	1 120 25                        ; triton_prefill_attention_aot.py:120:25
	v_exp_f32_e32 v46, v85
.Ltmp73:
	.loc	2 263 15                        ; standard.py:263:15 @[ standard.py:293:36 @[ triton_prefill_attention_aot.py:121:25 ] ]
	v_add_f32_e32 v1, v42, v1
.Ltmp74:
	.loc	1 120 25                        ; triton_prefill_attention_aot.py:120:25
	v_exp_f32_e32 v47, v86
.Ltmp75:
	.loc	2 263 15                        ; standard.py:263:15 @[ standard.py:293:36 @[ triton_prefill_attention_aot.py:121:25 ] ]
	v_add_f32_e32 v1, v43, v1
.Ltmp76:
	.loc	1 120 25                        ; triton_prefill_attention_aot.py:120:25
	v_exp_f32_e32 v48, v87
.Ltmp77:
	.loc	2 263 15                        ; standard.py:263:15 @[ standard.py:293:36 @[ triton_prefill_attention_aot.py:121:25 ] ]
	v_add_f32_e32 v1, v44, v1
.Ltmp78:
	.loc	1 120 25                        ; triton_prefill_attention_aot.py:120:25
	v_exp_f32_e32 v49, v88
.Ltmp79:
	.loc	2 263 15                        ; standard.py:263:15 @[ standard.py:293:36 @[ triton_prefill_attention_aot.py:121:25 ] ]
	v_add_f32_e32 v1, v45, v1
.Ltmp80:
	.loc	1 120 25                        ; triton_prefill_attention_aot.py:120:25
	v_exp_f32_e32 v184, v90
.Ltmp81:
	.loc	2 263 15                        ; standard.py:263:15 @[ standard.py:293:36 @[ triton_prefill_attention_aot.py:121:25 ] ]
	v_add_f32_e32 v1, v46, v1
.Ltmp82:
	.loc	1 120 25                        ; triton_prefill_attention_aot.py:120:25
	v_exp_f32_e32 v185, v146
.Ltmp83:
	.loc	2 263 15                        ; standard.py:263:15 @[ standard.py:293:36 @[ triton_prefill_attention_aot.py:121:25 ] ]
	v_add_f32_e32 v1, v47, v1
.Ltmp84:
	.loc	1 120 25                        ; triton_prefill_attention_aot.py:120:25
	v_exp_f32_e32 v186, v147
.Ltmp85:
	.loc	2 263 15                        ; standard.py:263:15 @[ standard.py:293:36 @[ triton_prefill_attention_aot.py:121:25 ] ]
	v_add_f32_e32 v1, v48, v1
.Ltmp86:
	.loc	1 120 25                        ; triton_prefill_attention_aot.py:120:25
	v_exp_f32_e32 v187, v150
.Ltmp87:
	.loc	2 263 15                        ; standard.py:263:15 @[ standard.py:293:36 @[ triton_prefill_attention_aot.py:121:25 ] ]
	v_add_f32_e32 v1, v49, v1
.Ltmp88:
	.loc	1 124 35                        ; triton_prefill_attention_aot.py:124:35
	v_sub_f32_e32 v0, v0, v18
.Ltmp89:
	.loc	2 263 15                        ; standard.py:263:15 @[ standard.py:293:36 @[ triton_prefill_attention_aot.py:121:25 ] ]
	v_add_f32_e32 v1, v184, v1
.Ltmp90:
	.loc	1 124 29                        ; triton_prefill_attention_aot.py:124:29
	v_exp_f32_e32 v21, v0
.Ltmp91:
	.loc	2 263 15                        ; standard.py:263:15 @[ standard.py:293:36 @[ triton_prefill_attention_aot.py:121:25 ] ]
	v_add_f32_e32 v1, v185, v1
	v_add_f32_e32 v1, v186, v1
	;; [unrolled: 1-line block ×3, first 2 shown]
.Ltmp92:
	.loc	1 127 20                        ; triton_prefill_attention_aot.py:127:20
	v_add_u32_e32 v0, v179, v148
.Ltmp93:
	.loc	2 293 36                        ; standard.py:293:36 @[ triton_prefill_attention_aot.py:121:25 ]
	ds_bpermute_b32 v20, v161, v19
.Ltmp94:
	.loc	1 127 20                        ; triton_prefill_attention_aot.py:127:20
	ds_write_b32 v0, v21
	s_waitcnt lgkmcnt(0)
	s_barrier
	ds_read_b32 v0, v180
	.loc	1 130 12                        ; triton_prefill_attention_aot.py:130:12
	s_mov_b64 s[0:1], exec
	v_readlane_b32 s2, v255, 9
	v_readlane_b32 s3, v255, 10
	s_and_b64 s[2:3], s[0:1], s[2:3]
	s_mov_b64 exec, s[2:3]
	s_cbranch_execz .LBB0_72
; %bb.71:                               ;   in Loop: Header=BB0_38 Depth=1
	.loc	1 0 12 is_stmt 0                ; triton_prefill_attention_aot.py:0:12
	s_lshl_b64 s[2:3], s[16:17], 1
	v_mov_b32_e32 v1, s3
	v_add_co_u32_e32 v188, vcc, s2, v114
	v_addc_co_u32_e32 v189, vcc, v113, v1, vcc
	.loc	1 130 12                        ; triton_prefill_attention_aot.py:130:12
	global_load_ushort v183, v[188:189], off
.LBB0_72:                               ;   in Loop: Header=BB0_38 Depth=1
	.loc	1 0 12                          ; triton_prefill_attention_aot.py:0:12
	s_or_b64 exec, exec, s[0:1]
	v_mov_b32_e32 v188, 0
	v_mov_b32_e32 v189, 0
	.loc	1 130 12                        ; triton_prefill_attention_aot.py:130:12
	s_mov_b64 s[0:1], exec
	v_readlane_b32 s2, v255, 11
	v_readlane_b32 s3, v255, 12
	s_and_b64 s[2:3], s[0:1], s[2:3]
	s_mov_b64 exec, s[2:3]
	s_cbranch_execz .LBB0_74
; %bb.73:                               ;   in Loop: Header=BB0_38 Depth=1
	.loc	1 130 21                        ; triton_prefill_attention_aot.py:130:21
	s_lshl_b64 s[2:3], s[16:17], 1
	v_mov_b32_e32 v1, s3
	v_add_co_u32_e32 v190, vcc, s2, v116
	v_addc_co_u32_e32 v191, vcc, v115, v1, vcc
	.loc	1 130 12                        ; triton_prefill_attention_aot.py:130:12
	global_load_ushort v189, v[190:191], off
.LBB0_74:                               ;   in Loop: Header=BB0_38 Depth=1
	.loc	1 0 12                          ; triton_prefill_attention_aot.py:0:12
	s_or_b64 exec, exec, s[0:1]
	.loc	1 130 12                        ; triton_prefill_attention_aot.py:130:12
	s_mov_b64 s[0:1], exec
	v_readlane_b32 s2, v255, 13
	v_readlane_b32 s3, v255, 14
	s_and_b64 s[2:3], s[0:1], s[2:3]
	s_mov_b64 exec, s[2:3]
	s_cbranch_execz .LBB0_76
; %bb.75:                               ;   in Loop: Header=BB0_38 Depth=1
	.loc	1 130 21                        ; triton_prefill_attention_aot.py:130:21
	s_lshl_b64 s[2:3], s[16:17], 1
	v_mov_b32_e32 v1, s3
	v_add_co_u32_e32 v190, vcc, s2, v118
	v_addc_co_u32_e32 v191, vcc, v117, v1, vcc
	.loc	1 130 12                        ; triton_prefill_attention_aot.py:130:12
	global_load_ushort v188, v[190:191], off
.LBB0_76:                               ;   in Loop: Header=BB0_38 Depth=1
	.loc	1 0 12                          ; triton_prefill_attention_aot.py:0:12
	s_or_b64 exec, exec, s[0:1]
	v_mov_b32_e32 v190, 0
	v_mov_b32_e32 v191, 0
	.loc	1 130 12                        ; triton_prefill_attention_aot.py:130:12
	s_mov_b64 s[0:1], exec
	v_readlane_b32 s2, v255, 15
	v_readlane_b32 s3, v255, 16
	s_and_b64 s[2:3], s[0:1], s[2:3]
	s_mov_b64 exec, s[2:3]
	s_cbranch_execz .LBB0_78
; %bb.77:                               ;   in Loop: Header=BB0_38 Depth=1
	.loc	1 130 21                        ; triton_prefill_attention_aot.py:130:21
	s_lshl_b64 s[2:3], s[16:17], 1
	v_mov_b32_e32 v1, s3
	v_add_co_u32_e32 v192, vcc, s2, v120
	v_addc_co_u32_e32 v193, vcc, v119, v1, vcc
	.loc	1 130 12                        ; triton_prefill_attention_aot.py:130:12
	global_load_ushort v191, v[192:193], off
.LBB0_78:                               ;   in Loop: Header=BB0_38 Depth=1
	.loc	1 0 12                          ; triton_prefill_attention_aot.py:0:12
	s_or_b64 exec, exec, s[0:1]
	.loc	1 130 12                        ; triton_prefill_attention_aot.py:130:12
	s_mov_b64 s[0:1], exec
	v_readlane_b32 s2, v255, 17
	v_readlane_b32 s3, v255, 18
	s_and_b64 s[2:3], s[0:1], s[2:3]
	s_mov_b64 exec, s[2:3]
	s_cbranch_execz .LBB0_80
; %bb.79:                               ;   in Loop: Header=BB0_38 Depth=1
	.loc	1 130 21                        ; triton_prefill_attention_aot.py:130:21
	s_lshl_b64 s[2:3], s[16:17], 1
	v_mov_b32_e32 v1, s3
	v_add_co_u32_e32 v192, vcc, s2, v122
	v_addc_co_u32_e32 v193, vcc, v121, v1, vcc
	.loc	1 130 12                        ; triton_prefill_attention_aot.py:130:12
	global_load_ushort v190, v[192:193], off
.LBB0_80:                               ;   in Loop: Header=BB0_38 Depth=1
	;; [unrolled: 38-line block ×6, first 2 shown]
	.loc	1 0 12                          ; triton_prefill_attention_aot.py:0:12
	s_or_b64 exec, exec, s[0:1]
	v_mov_b32_e32 v200, 0
	v_mov_b32_e32 v201, 0
	.loc	1 130 12                        ; triton_prefill_attention_aot.py:130:12
	s_mov_b64 s[0:1], exec
	v_readlane_b32 s2, v255, 35
	v_readlane_b32 s3, v255, 36
	s_and_b64 s[2:3], s[0:1], s[2:3]
	s_mov_b64 exec, s[2:3]
	s_cbranch_execz .LBB0_98
; %bb.97:                               ;   in Loop: Header=BB0_38 Depth=1
	.loc	1 130 21                        ; triton_prefill_attention_aot.py:130:21
	s_lshl_b64 s[2:3], s[16:17], 1
	v_mov_b32_e32 v1, s3
	v_add_co_u32_e32 v202, vcc, s2, v140
	v_addc_co_u32_e32 v203, vcc, v139, v1, vcc
	.loc	1 130 12                        ; triton_prefill_attention_aot.py:130:12
	global_load_ushort v201, v[202:203], off
.LBB0_98:                               ;   in Loop: Header=BB0_38 Depth=1
	.loc	1 0 12                          ; triton_prefill_attention_aot.py:0:12
	s_or_b64 exec, exec, s[0:1]
	.loc	1 130 12                        ; triton_prefill_attention_aot.py:130:12
	s_mov_b64 s[0:1], exec
	v_readlane_b32 s2, v255, 37
	v_readlane_b32 s3, v255, 38
	s_and_b64 s[2:3], s[0:1], s[2:3]
	s_mov_b64 exec, s[2:3]
	s_cbranch_execz .LBB0_100
; %bb.99:                               ;   in Loop: Header=BB0_38 Depth=1
	.loc	1 130 21                        ; triton_prefill_attention_aot.py:130:21
	s_lshl_b64 s[2:3], s[16:17], 1
	v_mov_b32_e32 v1, s3
	v_add_co_u32_e32 v202, vcc, s2, v142
	v_addc_co_u32_e32 v203, vcc, v141, v1, vcc
	.loc	1 130 12                        ; triton_prefill_attention_aot.py:130:12
	global_load_ushort v200, v[202:203], off
.LBB0_100:                              ;   in Loop: Header=BB0_38 Depth=1
	.loc	1 0 12                          ; triton_prefill_attention_aot.py:0:12
	s_or_b64 exec, exec, s[0:1]
	v_mov_b32_e32 v202, 0
	.loc	1 130 12                        ; triton_prefill_attention_aot.py:130:12
	s_and_saveexec_b64 s[0:1], s[30:31]
	s_cbranch_execz .LBB0_37
; %bb.101:                              ;   in Loop: Header=BB0_38 Depth=1
	.loc	1 130 21                        ; triton_prefill_attention_aot.py:130:21
	s_lshl_b64 s[2:3], s[16:17], 1
	v_mov_b32_e32 v1, s3
	v_add_co_u32_e32 v202, vcc, s2, v144
	v_addc_co_u32_e32 v203, vcc, v143, v1, vcc
	.loc	1 130 12                        ; triton_prefill_attention_aot.py:130:12
	global_load_ushort v202, v[202:203], off
	s_branch .LBB0_37
.LBB0_102:                              ; %._crit_edge.loopexit
	.loc	1 0 12                          ; triton_prefill_attention_aot.py:0:12
	buffer_load_dword v42, off, s[96:99], 0 offset:72 ; 4-byte Folded Reload
	buffer_load_dword v43, off, s[96:99], 0 offset:76 ; 4-byte Folded Reload
	;; [unrolled: 1-line block ×5, first 2 shown]
	v_readlane_b32 s20, v255, 2
	v_readlane_b32 s14, v255, 7
	;; [unrolled: 1-line block ×5, first 2 shown]
.LBB0_103:                              ; %Flow333
	s_load_dwordx2 s[0:1], s[20:21], 0x50
	.loc	1 45 26 is_stmt 1               ; triton_prefill_attention_aot.py:45:26
	s_waitcnt vmcnt(1)
	v_lshrrev_b32_e32 v0, 3, v45
	.loc	1 47 33                         ; triton_prefill_attention_aot.py:47:33
	v_or3_b32 v0, v42, v0, s15
	.loc	1 139 16                        ; triton_prefill_attention_aot.py:139:16
	v_add_u32_e32 v1, 0, v43
	.loc	1 60 32                         ; triton_prefill_attention_aot.py:60:32
	v_cmp_gt_i32_e32 vcc, s13, v0
	.loc	1 139 16                        ; triton_prefill_attention_aot.py:139:16
	v_add_u32_e32 v18, v1, v148
	s_waitcnt lgkmcnt(0)
	s_barrier
	ds_write_b32 v18, v22
	s_waitcnt lgkmcnt(0)
	s_barrier
	.loc	1 147 18                        ; triton_prefill_attention_aot.py:147:18
	s_and_saveexec_b64 s[2:3], vcc
	s_cbranch_execz .LBB0_105
; %bb.104:                              ; %.critedge
	.loc	1 139 16                        ; triton_prefill_attention_aot.py:139:16
	s_waitcnt vmcnt(0)
	v_add_u32_e32 v1, v1, v46
	ds_read_b32 v24, v1
	.loc	1 46 26                         ; triton_prefill_attention_aot.py:46:26
	v_lshrrev_b32_e32 v1, 1, v44
	.loc	1 49 40                         ; triton_prefill_attention_aot.py:49:40
	v_add_u32_e32 v0, s14, v0
	.loc	1 46 26                         ; triton_prefill_attention_aot.py:46:26
	v_or_b32_e32 v1, v149, v1
	.loc	1 141 59                        ; triton_prefill_attention_aot.py:141:59
	v_mul_lo_u32 v0, v0, s0
	.loc	1 139 16                        ; triton_prefill_attention_aot.py:139:16
	s_waitcnt lgkmcnt(0)
	v_div_scale_f32 v18, s[2:3], v24, v24, v17
	v_rcp_f32_e32 v19, v18
	v_div_scale_f32 v20, vcc, v17, v24, v17
	.loc	1 142 21                        ; triton_prefill_attention_aot.py:142:21
	s_mul_i32 s0, s1, s19
	.loc	1 139 16                        ; triton_prefill_attention_aot.py:139:16
	v_fma_f32 v21, -v18, v19, 1.0
	v_fmac_f32_e32 v19, v21, v19
	v_mul_f32_e32 v21, v20, v19
	v_fma_f32 v22, -v18, v21, v20
	v_fmac_f32_e32 v21, v22, v19
	v_fma_f32 v18, -v18, v21, v20
	v_div_scale_f32 v20, s[2:3], v24, v24, v16
	v_rcp_f32_e32 v22, v20
	v_div_fmas_f32 v18, v18, v19, v21
	v_div_fixup_f32 v17, v18, v24, v17
	.loc	1 147 18                        ; triton_prefill_attention_aot.py:147:18
	v_cvt_f16_f32_e32 v25, v17
	.loc	1 139 16                        ; triton_prefill_attention_aot.py:139:16
	v_fma_f32 v17, -v20, v22, 1.0
	v_fmac_f32_e32 v22, v17, v22
	v_div_scale_f32 v17, vcc, v16, v24, v16
	v_mul_f32_e32 v18, v17, v22
	v_fma_f32 v19, -v20, v18, v17
	v_fmac_f32_e32 v18, v19, v22
	v_div_scale_f32 v19, s[2:3], v24, v24, v15
	v_fma_f32 v17, -v20, v18, v17
	v_rcp_f32_e32 v20, v19
	v_div_fmas_f32 v17, v17, v22, v18
	v_div_fixup_f32 v16, v17, v24, v16
	.loc	1 147 18                        ; triton_prefill_attention_aot.py:147:18
	v_cvt_f16_f32_e32 v26, v16
	.loc	1 139 16                        ; triton_prefill_attention_aot.py:139:16
	v_fma_f32 v16, -v19, v20, 1.0
	v_fmac_f32_e32 v20, v16, v20
	v_div_scale_f32 v16, vcc, v15, v24, v15
	v_mul_f32_e32 v17, v16, v20
	v_fma_f32 v18, -v19, v17, v16
	v_fmac_f32_e32 v17, v18, v20
	v_div_scale_f32 v18, s[2:3], v24, v24, v14
	v_fma_f32 v16, -v19, v17, v16
	;; [unrolled: 14-line block ×12, first 2 shown]
	v_rcp_f32_e32 v9, v8
	v_div_fmas_f32 v6, v6, v10, v7
	v_div_fixup_f32 v5, v6, v24, v5
	.loc	1 147 18                        ; triton_prefill_attention_aot.py:147:18
	v_cvt_f16_f32_e32 v37, v5
	.loc	1 139 16                        ; triton_prefill_attention_aot.py:139:16
	v_fma_f32 v5, -v8, v9, 1.0
	v_fmac_f32_e32 v9, v5, v9
	v_div_scale_f32 v5, vcc, v4, v24, v4
	v_mul_f32_e32 v6, v5, v9
	v_fma_f32 v7, -v8, v6, v5
	v_fmac_f32_e32 v6, v7, v9
	.loc	1 143 10                        ; triton_prefill_attention_aot.py:143:10
	v_add3_u32 v22, v0, s0, v1
	.loc	1 139 16                        ; triton_prefill_attention_aot.py:139:16
	v_fma_f32 v5, -v8, v6, v5
	.loc	1 143 10                        ; triton_prefill_attention_aot.py:143:10
	v_add_u32_e32 v0, 27, v22
	.loc	1 139 16                        ; triton_prefill_attention_aot.py:139:16
	v_div_fmas_f32 v5, v5, v9, v6
	.loc	1 145 21                        ; triton_prefill_attention_aot.py:145:21
	v_ashrrev_i32_e32 v1, 31, v0
	v_readlane_b32 s2, v255, 0
	.loc	1 139 16                        ; triton_prefill_attention_aot.py:139:16
	v_div_fixup_f32 v4, v5, v24, v4
	.loc	1 145 21                        ; triton_prefill_attention_aot.py:145:21
	v_lshlrev_b64 v[0:1], 1, v[0:1]
	v_readlane_b32 s3, v255, 1
	.loc	1 147 18                        ; triton_prefill_attention_aot.py:147:18
	v_cvt_f16_f32_e32 v38, v4
	.loc	1 145 21                        ; triton_prefill_attention_aot.py:145:21
	v_mov_b32_e32 v4, s3
	v_add_co_u32_e32 v0, vcc, s2, v0
	v_addc_co_u32_e32 v1, vcc, v4, v1, vcc
	.loc	1 143 10                        ; triton_prefill_attention_aot.py:143:10
	v_add_u32_e32 v4, 26, v22
	.loc	1 145 21                        ; triton_prefill_attention_aot.py:145:21
	v_ashrrev_i32_e32 v5, 31, v4
	v_lshlrev_b64 v[4:5], 1, v[4:5]
	v_mov_b32_e32 v6, s3
	v_add_co_u32_e32 v4, vcc, s2, v4
	v_addc_co_u32_e32 v5, vcc, v6, v5, vcc
	.loc	1 143 10                        ; triton_prefill_attention_aot.py:143:10
	v_add_u32_e32 v6, 25, v22
	.loc	1 145 21                        ; triton_prefill_attention_aot.py:145:21
	v_ashrrev_i32_e32 v7, 31, v6
	v_lshlrev_b64 v[6:7], 1, v[6:7]
	;; [unrolled: 8-line block ×8, first 2 shown]
	v_mov_b32_e32 v20, s3
	v_add_co_u32_e32 v18, vcc, s2, v18
	.loc	1 139 16                        ; triton_prefill_attention_aot.py:139:16
	v_div_scale_f32 v39, s[0:1], v24, v24, v2
	.loc	1 145 21                        ; triton_prefill_attention_aot.py:145:21
	v_addc_co_u32_e32 v19, vcc, v20, v19, vcc
	.loc	1 143 10                        ; triton_prefill_attention_aot.py:143:10
	v_add_u32_e32 v20, 10, v22
	.loc	1 139 16                        ; triton_prefill_attention_aot.py:139:16
	v_rcp_f32_e32 v40, v39
	.loc	1 145 21                        ; triton_prefill_attention_aot.py:145:21
	v_ashrrev_i32_e32 v21, 31, v20
	v_lshlrev_b64 v[20:21], 1, v[20:21]
	v_mov_b32_e32 v23, s3
	v_add_co_u32_e32 v20, vcc, s2, v20
	v_addc_co_u32_e32 v21, vcc, v23, v21, vcc
	.loc	1 139 16                        ; triton_prefill_attention_aot.py:139:16
	v_fma_f32 v42, -v39, v40, 1.0
	v_fmac_f32_e32 v40, v42, v40
	v_div_scale_f32 v42, vcc, v2, v24, v2
	v_mul_f32_e32 v43, v42, v40
	v_fma_f32 v44, -v39, v43, v42
	v_fmac_f32_e32 v43, v44, v40
	v_fma_f32 v39, -v39, v43, v42
	v_div_scale_f32 v42, s[0:1], v24, v24, v3
	v_rcp_f32_e32 v44, v42
	v_div_fmas_f32 v39, v39, v40, v43
	v_div_fixup_f32 v2, v39, v24, v2
	.loc	1 147 18                        ; triton_prefill_attention_aot.py:147:18
	v_cvt_f16_f32_e32 v39, v2
	.loc	1 139 16                        ; triton_prefill_attention_aot.py:139:16
	v_fma_f32 v2, -v42, v44, 1.0
	v_fmac_f32_e32 v44, v2, v44
	v_div_scale_f32 v2, vcc, v3, v24, v3
	v_mul_f32_e32 v40, v2, v44
	v_fma_f32 v43, -v42, v40, v2
	v_fmac_f32_e32 v40, v43, v44
	v_fma_f32 v2, -v42, v40, v2
	v_div_fmas_f32 v2, v2, v44, v40
	v_div_fixup_f32 v2, v2, v24, v3
	.loc	1 143 10                        ; triton_prefill_attention_aot.py:143:10
	v_add_u32_e32 v22, 9, v22
	.loc	1 147 18                        ; triton_prefill_attention_aot.py:147:18
	v_cvt_f16_f32_e32 v24, v2
	.loc	1 145 21                        ; triton_prefill_attention_aot.py:145:21
	v_ashrrev_i32_e32 v23, 31, v22
	v_lshlrev_b64 v[22:23], 1, v[22:23]
	v_mov_b32_e32 v41, s3
	v_add_co_u32_e32 v2, vcc, s2, v22
	v_addc_co_u32_e32 v3, vcc, v41, v23, vcc
	.loc	1 147 18                        ; triton_prefill_attention_aot.py:147:18
	v_pack_b32_f16 v23, v38, v37
	v_pack_b32_f16 v22, v39, v24
	global_store_dwordx2 v[2:3], v[22:23], off offset:-18
	v_pack_b32_f16 v22, v36, v35
	global_store_dword v[2:3], v22, off offset:-2
	global_store_short v[20:21], v34, off
	global_store_short v[18:19], v33, off
	;; [unrolled: 1-line block ×10, first 2 shown]
.LBB0_105:                              ; %.critedge28
	.loc	1 146 4                         ; triton_prefill_attention_aot.py:146:4
	s_endpgm
.Ltmp95:
	.section	.rodata,"a",@progbits
	.p2align	6, 0x0
	.amdhsa_kernel _fwd_kernel
		.amdhsa_group_segment_fixed_size 0
		.amdhsa_private_segment_fixed_size 96
		.amdhsa_kernarg_size 104
		.amdhsa_user_sgpr_count 16
		.amdhsa_user_sgpr_private_segment_buffer 1
		.amdhsa_user_sgpr_dispatch_ptr 0
		.amdhsa_user_sgpr_queue_ptr 0
		.amdhsa_user_sgpr_kernarg_segment_ptr 1
		.amdhsa_user_sgpr_dispatch_id 0
		.amdhsa_user_sgpr_flat_scratch_init 0
		.amdhsa_user_sgpr_kernarg_preload_length 10
		.amdhsa_user_sgpr_kernarg_preload_offset 0
		.amdhsa_user_sgpr_private_segment_size 0
		.amdhsa_uses_dynamic_stack 0
		.amdhsa_system_sgpr_private_segment_wavefront_offset 1
		.amdhsa_system_sgpr_workgroup_id_x 1
		.amdhsa_system_sgpr_workgroup_id_y 1
		.amdhsa_system_sgpr_workgroup_id_z 1
		.amdhsa_system_sgpr_workgroup_info 0
		.amdhsa_system_vgpr_workitem_id 0
		.amdhsa_next_free_vgpr 256
		.amdhsa_next_free_sgpr 100
		.amdhsa_accum_offset 256
		.amdhsa_reserve_vcc 1
		.amdhsa_reserve_flat_scratch 0
		.amdhsa_reserve_xnack_mask 1
		.amdhsa_float_round_mode_32 0
		.amdhsa_float_round_mode_16_64 0
		.amdhsa_float_denorm_mode_32 3
		.amdhsa_float_denorm_mode_16_64 3
		.amdhsa_dx10_clamp 1
		.amdhsa_ieee_mode 1
		.amdhsa_fp16_overflow 0
		.amdhsa_tg_split 0
		.amdhsa_exception_fp_ieee_invalid_op 0
		.amdhsa_exception_fp_denorm_src 0
		.amdhsa_exception_fp_ieee_div_zero 0
		.amdhsa_exception_fp_ieee_overflow 0
		.amdhsa_exception_fp_ieee_underflow 0
		.amdhsa_exception_fp_ieee_inexact 0
		.amdhsa_exception_int_div_zero 0
	.end_amdhsa_kernel
	.text
.Lfunc_end0:
	.size	_fwd_kernel, .Lfunc_end0-_fwd_kernel
	.cfi_endproc
                                        ; -- End function
	.set _fwd_kernel.num_vgpr, 256
	.set _fwd_kernel.num_agpr, 0
	.set _fwd_kernel.numbered_sgpr, 100
	.set _fwd_kernel.num_named_barrier, 0
	.set _fwd_kernel.private_seg_size, 96
	.set _fwd_kernel.uses_vcc, 1
	.set _fwd_kernel.uses_flat_scratch, 0
	.set _fwd_kernel.has_dyn_sized_stack, 0
	.set _fwd_kernel.has_recursion, 0
	.set _fwd_kernel.has_indirect_call, 0
	.section	.AMDGPU.csdata,"",@progbits
; Kernel info:
; codeLenInByte = 11768
; TotalNumSgprs: 104
; NumVgprs: 256
; NumAgprs: 0
; TotalNumVgprs: 256
; ScratchSize: 96
; MemoryBound: 0
; FloatMode: 240
; IeeeMode: 1
; LDSByteSize: 0 bytes/workgroup (compile time only)
; SGPRBlocks: 12
; VGPRBlocks: 31
; NumSGPRsForWavesPerEU: 104
; NumVGPRsForWavesPerEU: 256
; AccumOffset: 256
; Occupancy: 2
; WaveLimiterHint : 1
; COMPUTE_PGM_RSRC2:SCRATCH_EN: 1
; COMPUTE_PGM_RSRC2:USER_SGPR: 16
; COMPUTE_PGM_RSRC2:TRAP_HANDLER: 0
; COMPUTE_PGM_RSRC2:TGID_X_EN: 1
; COMPUTE_PGM_RSRC2:TGID_Y_EN: 1
; COMPUTE_PGM_RSRC2:TGID_Z_EN: 1
; COMPUTE_PGM_RSRC2:TIDIG_COMP_CNT: 0
; COMPUTE_PGM_RSRC3_GFX90A:ACCUM_OFFSET: 63
; COMPUTE_PGM_RSRC3_GFX90A:TG_SPLIT: 0
	.text
	.p2alignl 6, 3212836864
	.fill 256, 4, 3212836864
	.section	.AMDGPU.gpr_maximums,"",@progbits
	.set amdgpu.max_num_vgpr, 0
	.set amdgpu.max_num_agpr, 0
	.set amdgpu.max_num_sgpr, 0
	.set amdgpu.max_num_named_barrier, 0
	.text
	.section	.debug_abbrev,"",@progbits
	.byte	1                               ; Abbreviation Code
	.byte	17                              ; DW_TAG_compile_unit
	.byte	1                               ; DW_CHILDREN_yes
	.byte	37                              ; DW_AT_producer
	.byte	14                              ; DW_FORM_strp
	.byte	19                              ; DW_AT_language
	.byte	5                               ; DW_FORM_data2
	.byte	3                               ; DW_AT_name
	.byte	14                              ; DW_FORM_strp
	.byte	16                              ; DW_AT_stmt_list
	.byte	23                              ; DW_FORM_sec_offset
	.byte	27                              ; DW_AT_comp_dir
	.byte	14                              ; DW_FORM_strp
	.byte	17                              ; DW_AT_low_pc
	.byte	1                               ; DW_FORM_addr
	.byte	18                              ; DW_AT_high_pc
	.byte	6                               ; DW_FORM_data4
	.byte	0                               ; EOM(1)
	.byte	0                               ; EOM(2)
	.byte	2                               ; Abbreviation Code
	.byte	46                              ; DW_TAG_subprogram
	.byte	0                               ; DW_CHILDREN_no
	.byte	3                               ; DW_AT_name
	.byte	14                              ; DW_FORM_strp
	.byte	32                              ; DW_AT_inline
	.byte	11                              ; DW_FORM_data1
	.byte	0                               ; EOM(1)
	.byte	0                               ; EOM(2)
	.byte	3                               ; Abbreviation Code
	.byte	46                              ; DW_TAG_subprogram
	.byte	1                               ; DW_CHILDREN_yes
	.byte	17                              ; DW_AT_low_pc
	.byte	1                               ; DW_FORM_addr
	.byte	18                              ; DW_AT_high_pc
	.byte	6                               ; DW_FORM_data4
	.byte	49                              ; DW_AT_abstract_origin
	.byte	19                              ; DW_FORM_ref4
	.byte	0                               ; EOM(1)
	.byte	0                               ; EOM(2)
	.byte	4                               ; Abbreviation Code
	.byte	29                              ; DW_TAG_inlined_subroutine
	.byte	1                               ; DW_CHILDREN_yes
	.byte	49                              ; DW_AT_abstract_origin
	.byte	19                              ; DW_FORM_ref4
	.byte	85                              ; DW_AT_ranges
	.byte	23                              ; DW_FORM_sec_offset
	.byte	88                              ; DW_AT_call_file
	.byte	11                              ; DW_FORM_data1
	.byte	89                              ; DW_AT_call_line
	.byte	11                              ; DW_FORM_data1
	.byte	87                              ; DW_AT_call_column
	.byte	11                              ; DW_FORM_data1
	.byte	0                               ; EOM(1)
	.byte	0                               ; EOM(2)
	.byte	5                               ; Abbreviation Code
	.byte	29                              ; DW_TAG_inlined_subroutine
	.byte	0                               ; DW_CHILDREN_no
	.byte	49                              ; DW_AT_abstract_origin
	.byte	19                              ; DW_FORM_ref4
	.byte	85                              ; DW_AT_ranges
	.byte	23                              ; DW_FORM_sec_offset
	.byte	88                              ; DW_AT_call_file
	.byte	11                              ; DW_FORM_data1
	.byte	89                              ; DW_AT_call_line
	.byte	5                               ; DW_FORM_data2
	.byte	87                              ; DW_AT_call_column
	.byte	11                              ; DW_FORM_data1
	.byte	0                               ; EOM(1)
	.byte	0                               ; EOM(2)
	.byte	6                               ; Abbreviation Code
	.byte	29                              ; DW_TAG_inlined_subroutine
	.byte	0                               ; DW_CHILDREN_no
	.byte	49                              ; DW_AT_abstract_origin
	.byte	19                              ; DW_FORM_ref4
	.byte	85                              ; DW_AT_ranges
	.byte	23                              ; DW_FORM_sec_offset
	.byte	88                              ; DW_AT_call_file
	.byte	11                              ; DW_FORM_data1
	.byte	89                              ; DW_AT_call_line
	.byte	11                              ; DW_FORM_data1
	.byte	87                              ; DW_AT_call_column
	.byte	11                              ; DW_FORM_data1
	.byte	0                               ; EOM(1)
	.byte	0                               ; EOM(2)
	.byte	0                               ; EOM(3)
	.section	.debug_info,"",@progbits
.Lcu_begin0:
	.long	.Ldebug_info_end0-.Ldebug_info_start0 ; Length of Unit
.Ldebug_info_start0:
	.short	4                               ; DWARF version number
	.long	.debug_abbrev                   ; Offset Into Abbrev. Section
	.byte	8                               ; Address Size (in bytes)
	.byte	1                               ; Abbrev [1] 0xb:0x6b DW_TAG_compile_unit
	.long	.Linfo_string0                  ; DW_AT_producer
	.short	2                               ; DW_AT_language
	.long	.Linfo_string1                  ; DW_AT_name
	.long	.Lline_table_start0             ; DW_AT_stmt_list
	.long	.Linfo_string2                  ; DW_AT_comp_dir
	.quad	.Lfunc_begin0                   ; DW_AT_low_pc
	.long	.Lfunc_end0-.Lfunc_begin0       ; DW_AT_high_pc
	.byte	2                               ; Abbrev [2] 0x2a:0x6 DW_TAG_subprogram
	.long	.Linfo_string3                  ; DW_AT_name
	.byte	1                               ; DW_AT_inline
	.byte	3                               ; Abbrev [3] 0x30:0x45 DW_TAG_subprogram
	.quad	.Lfunc_begin0                   ; DW_AT_low_pc
	.long	.Lfunc_end0-.Lfunc_begin0       ; DW_AT_high_pc
	.long	42                              ; DW_AT_abstract_origin
	.byte	4                               ; Abbrev [4] 0x41:0x1a DW_TAG_inlined_subroutine
	.long	42                              ; DW_AT_abstract_origin
	.long	.Ldebug_ranges0                 ; DW_AT_ranges
	.byte	1                               ; DW_AT_call_file
	.byte	121                             ; DW_AT_call_line
	.byte	25                              ; DW_AT_call_column
	.byte	5                               ; Abbrev [5] 0x4d:0xd DW_TAG_inlined_subroutine
	.long	42                              ; DW_AT_abstract_origin
	.long	.Ldebug_ranges1                 ; DW_AT_ranges
	.byte	2                               ; DW_AT_call_file
	.short	293                             ; DW_AT_call_line
	.byte	36                              ; DW_AT_call_column
	.byte	0                               ; End Of Children Mark
	.byte	4                               ; Abbrev [4] 0x5b:0x19 DW_TAG_inlined_subroutine
	.long	42                              ; DW_AT_abstract_origin
	.long	.Ldebug_ranges2                 ; DW_AT_ranges
	.byte	1                               ; DW_AT_call_file
	.byte	118                             ; DW_AT_call_line
	.byte	42                              ; DW_AT_call_column
	.byte	6                               ; Abbrev [6] 0x67:0xc DW_TAG_inlined_subroutine
	.long	42                              ; DW_AT_abstract_origin
	.long	.Ldebug_ranges3                 ; DW_AT_ranges
	.byte	2                               ; DW_AT_call_file
	.byte	191                             ; DW_AT_call_line
	.byte	40                              ; DW_AT_call_column
	.byte	0                               ; End Of Children Mark
	.byte	0                               ; End Of Children Mark
	;; [unrolled: 1-line block ×3, first 2 shown]
.Ldebug_info_end0:
	.section	.debug_ranges,"",@progbits
.Ldebug_ranges0:
	.quad	.Ltmp2-.Lfunc_begin0
	.quad	.Ltmp3-.Lfunc_begin0
	;; [unrolled: 1-line block ×62, first 2 shown]
	.quad	0
	.quad	0
.Ldebug_ranges1:
	.quad	.Ltmp2-.Lfunc_begin0
	.quad	.Ltmp3-.Lfunc_begin0
	;; [unrolled: 1-line block ×60, first 2 shown]
	.quad	0
	.quad	0
.Ldebug_ranges2:
	.quad	.Ltmp4-.Lfunc_begin0
	.quad	.Ltmp5-.Lfunc_begin0
	;; [unrolled: 1-line block ×30, first 2 shown]
	.quad	0
	.quad	0
.Ldebug_ranges3:
	.quad	.Ltmp4-.Lfunc_begin0
	.quad	.Ltmp5-.Lfunc_begin0
	;; [unrolled: 1-line block ×30, first 2 shown]
	.quad	0
	.quad	0
	.section	.debug_str,"MS",@progbits,1
.Linfo_string0:
	.asciz	"triton"                        ; string offset=0
.Linfo_string1:
	.asciz	"triton_prefill_attention_aot.py" ; string offset=7
.Linfo_string2:
	.asciz	"/root/src/amdgpu-assembly/repos/vllm-project__vllm/triton_aot_kernels" ; string offset=39
.Linfo_string3:
	.asciz	"_fwd_kernel"                   ; string offset=109
	.section	".note.GNU-stack","",@progbits
	.amdgpu_metadata
---
amdhsa.kernels:
  - .agpr_count:     0
    .args:
      - .address_space:  global
        .offset:         0
        .size:           8
        .value_kind:     global_buffer
      - .address_space:  global
        .offset:         8
        .size:           8
        .value_kind:     global_buffer
      - .address_space:  global
        .offset:         16
        .size:           8
        .value_kind:     global_buffer
      - .offset:         24
        .size:           4
        .value_kind:     by_value
      - .address_space:  global
        .offset:         32
        .size:           8
        .value_kind:     global_buffer
      - .address_space:  global
        .offset:         40
        .size:           8
        .value_kind:     global_buffer
      - .address_space:  global
        .offset:         48
        .size:           8
        .value_kind:     global_buffer
      - .offset:         56
        .size:           4
        .value_kind:     by_value
      - .offset:         60
        .size:           4
        .value_kind:     by_value
      - .offset:         64
        .size:           4
        .value_kind:     by_value
      - .offset:         68
        .size:           4
        .value_kind:     by_value
      - .offset:         72
        .size:           4
        .value_kind:     by_value
      - .offset:         76
        .size:           4
        .value_kind:     by_value
      - .offset:         80
        .size:           4
        .value_kind:     by_value
      - .offset:         84
        .size:           4
        .value_kind:     by_value
      - .address_space:  global
        .offset:         88
        .size:           8
        .value_kind:     global_buffer
      - .address_space:  global
        .offset:         96
        .size:           8
        .value_kind:     global_buffer
    .group_segment_fixed_size: 0
    .kernarg_segment_align: 8
    .kernarg_segment_size: 104
    .max_flat_workgroup_size: 512
    .name:           _fwd_kernel
    .private_segment_fixed_size: 96
    .sgpr_count:     104
    .sgpr_spill_count: 39
    .symbol:         _fwd_kernel.kd
    .uniform_work_group_size: 1
    .uses_dynamic_stack: false
    .vgpr_count:     256
    .vgpr_spill_count: 23
    .wavefront_size: 64
amdhsa.target:   amdgcn-amd-amdhsa--gfx90a
amdhsa.version:
  - 1
  - 2
...

	.end_amdgpu_metadata
	.section	.debug_line,"",@progbits
.Lline_table_start0:
